;; amdgpu-corpus repo=ROCm/aiter kind=harvested arch=n/a opt=n/a

/root/src/amdgpu-assembly/repos/ROCm__aiter/hsa/gfx942/fmoe/gelu/fmoe_fp8_g1u1_subGU_320_gelu_tkw1.co:	file format elf64-amdgpu

Disassembly of section .text:

0000000000002b00 <fmoe_fp8_g1u1_subGU_320_gelu_tkw1>:
	s_and_b32 s1, s1, 0xffff                                   // 000000002B00: 8601FF01 0000FFFF
	s_load_dwordx2 s[8:9], s[0:1], 0x0                         // 000000002B08: C0060200 00000000
	s_load_dwordx2 s[20:21], s[0:1], 0x10                      // 000000002B10: C0060500 00000010
	s_load_dwordx2 s[24:25], s[0:1], 0x20                      // 000000002B18: C0060600 00000020
	s_load_dwordx2 s[50:51], s[0:1], 0x30                      // 000000002B20: C0060C80 00000030
	s_load_dwordx2 s[12:13], s[0:1], 0x40                      // 000000002B28: C0060300 00000040
	s_load_dwordx2 s[28:29], s[0:1], 0x50                      // 000000002B30: C0060700 00000050
	s_load_dwordx2 s[32:33], s[0:1], 0x60                      // 000000002B38: C0060800 00000060
	s_load_dwordx2 s[16:17], s[0:1], 0x70                      // 000000002B40: C0060400 00000070
	s_load_dwordx2 s[36:37], s[0:1], 0x80                      // 000000002B48: C0060900 00000080
	s_load_dwordx2 s[44:45], s[0:1], 0x90                      // 000000002B50: C0060B00 00000090
	s_load_dwordx2 s[40:41], s[0:1], 0xa0                      // 000000002B58: C0060A00 000000A0
	s_load_dwordx2 s[46:47], s[0:1], 0xb0                      // 000000002B60: C0060B80 000000B0
	s_load_dword s64, s[0:1], 0xc0                             // 000000002B68: C0021000 000000C0
	s_load_dword s65, s[0:1], 0xd0                             // 000000002B70: C0021040 000000D0
	s_load_dword s66, s[0:1], 0xe0                             // 000000002B78: C0021080 000000E0
	s_load_dword s67, s[0:1], 0xf0                             // 000000002B80: C00210C0 000000F0
	s_load_dword s68, s[0:1], 0x100                            // 000000002B88: C0021100 00000100
	s_load_dword s69, s[0:1], 0x110                            // 000000002B90: C0021140 00000110
	s_load_dword s70, s[0:1], 0x120                            // 000000002B98: C0021180 00000120
	s_load_dword s71, s[0:1], 0x130                            // 000000002BA0: C00211C0 00000130
	s_load_dword s72, s[0:1], 0x140                            // 000000002BA8: C0021200 00000140
	s_load_dword s73, s[0:1], 0x150                            // 000000002BB0: C0021240 00000150
	s_load_dword s74, s[0:1], 0x160                            // 000000002BB8: C0021280 00000160
	s_load_dword s75, s[0:1], 0x170                            // 000000002BC0: C00212C0 00000170
	s_load_dword s76, s[0:1], 0x180                            // 000000002BC8: C0021300 00000180
	v_lshrrev_b32_e32 v1, 10, v0                               // 000000002BD0: 2002008A
	v_lshrrev_b32_e32 v2, 10, v1                               // 000000002BD4: 2004028A
	v_and_b32_e32 v2, 0x3ff, v2                                // 000000002BD8: 260404FF 000003FF
	v_and_b32_e32 v1, 0x3ff, v1                                // 000000002BE0: 260202FF 000003FF
	v_and_b32_e32 v0, 0x3ff, v0                                // 000000002BE8: 260000FF 000003FF
	v_lshrrev_b32_e32 v3, 6, v0                                // 000000002BF0: 20060086
	v_and_b32_e32 v0, 63, v0                                   // 000000002BF4: 260000BF
	s_mov_b32 s2, s2                                           // 000000002BF8: BE820002
	s_mov_b32 s3, s3                                           // 000000002BFC: BE830003
	s_mov_b32 s4, s4                                           // 000000002C00: BE840004
	v_readfirstlane_b32 s7, v3                                 // 000000002C04: 7E0E0503
	s_waitcnt lgkmcnt(0)                                       // 000000002C08: BF8CC07F
	s_and_b32 s51, s51, 0xffff                                 // 000000002C0C: 8633FF33 0000FFFF
	s_load_dword s50, s[50:51], 0x0                            // 000000002C14: C0020C99 00000000
	s_and_b32 s45, s45, 0xffff                                 // 000000002C1C: 862DFF2D 0000FFFF
	s_and_b32 s47, s47, 0xffff                                 // 000000002C24: 862FFF2F 0000FFFF
	s_and_b32 s9, s9, 0xffff                                   // 000000002C2C: 8609FF09 0000FFFF
	s_mul_i32 s60, s66, s68                                    // 000000002C34: 923C4442
	s_mul_i32 s61, s66, 4                                      // 000000002C38: 923D8442
	s_mov_b32 s22, s60                                         // 000000002C3C: BE96003C
	s_mov_b32 s26, 0x80000000                                  // 000000002C40: BE9A00FF 80000000
	s_mov_b32 s14, 0x80000000                                  // 000000002C48: BE8E00FF 80000000
	s_mov_b32 s42, 0x80000000                                  // 000000002C50: BEAA00FF 80000000
	s_mov_b32 s30, s61                                         // 000000002C58: BE9E003D
	s_mov_b32 s34, 0x500                                       // 000000002C5C: BEA200FF 00000500
	s_mov_b32 s38, 0x500                                       // 000000002C64: BEA600FF 00000500
	s_mov_b32 s18, 0x80000000                                  // 000000002C6C: BE9200FF 80000000
	s_mov_b32 s23, 0x20000                                     // 000000002C74: BE9700FF 00020000
	s_mov_b32 s27, 0x20000                                     // 000000002C7C: BE9B00FF 00020000
	s_mov_b32 s15, 0x20000                                     // 000000002C84: BE8F00FF 00020000
	s_mov_b32 s43, 0x20000                                     // 000000002C8C: BEAB00FF 00020000
	s_mov_b32 s31, 0x20000                                     // 000000002C94: BE9F00FF 00020000
	s_mov_b32 s35, 0x20000                                     // 000000002C9C: BEA300FF 00020000
	s_mov_b32 s39, 0x20000                                     // 000000002CA4: BEA700FF 00020000
	s_mov_b32 s19, 0x20000                                     // 000000002CAC: BE9300FF 00020000
	s_and_b32 s21, s21, 0xffff                                 // 000000002CB4: 8615FF15 0000FFFF
	s_and_b32 s25, s25, 0xffff                                 // 000000002CBC: 8619FF19 0000FFFF
	s_and_b32 s13, s13, 0xffff                                 // 000000002CC4: 860DFF0D 0000FFFF
	s_and_b32 s41, s41, 0xffff                                 // 000000002CCC: 8629FF29 0000FFFF
	s_and_b32 s29, s29, 0xffff                                 // 000000002CD4: 861DFF1D 0000FFFF
	s_and_b32 s33, s33, 0xffff                                 // 000000002CDC: 8621FF21 0000FFFF
	s_and_b32 s37, s37, 0xffff                                 // 000000002CE4: 8625FF25 0000FFFF
	s_and_b32 s17, s17, 0xffff                                 // 000000002CEC: 8611FF11 0000FFFF
	s_or_b32 s21, s21, 0x40000                                 // 000000002CF4: 8715FF15 00040000
	s_or_b32 s25, s25, 0x40000                                 // 000000002CFC: 8719FF19 00040000
	s_or_b32 s13, s13, 0x40000                                 // 000000002D04: 870DFF0D 00040000
	s_or_b32 s41, s41, 0x40000                                 // 000000002D0C: 8729FF29 00040000
	s_or_b32 s29, s29, 0x40000                                 // 000000002D14: 871DFF1D 00040000
	s_or_b32 s33, s33, 0x40000                                 // 000000002D1C: 8721FF21 00040000
	s_or_b32 s37, s37, 0x40000                                 // 000000002D24: 8725FF25 00040000
	s_or_b32 s17, s17, 0x40000                                 // 000000002D2C: 8711FF11 00040000
	v_accvgpr_write_b32 a159, 0                                // 000000002D34: D3D9409F 18000080
	v_mov_b32_e32 v231, 0                                      // 000000002D3C: 7FCE0280
	s_waitcnt lgkmcnt(0)                                       // 000000002D40: BF8CC07F
	s_mul_i32 s60, s3, 32                                      // 000000002D44: 923CA003
	s_cmp_lt_i32 s60, s50                                      // 000000002D48: BF04323C
	s_cbranch_scc0 label_1D96                                  // 000000002D4C: BF841D02
	s_mov_b32 s80, 0                                           // 000000002D50: BED00080
	s_mov_b32 s81, s64                                         // 000000002D54: BED10040
	s_mul_i32 s60, s3, 4                                       // 000000002D58: 923C8403
	s_add_u32 s46, s60, s46                                    // 000000002D5C: 802E2E3C
	s_addc_u32 s47, 0, s47                                     // 000000002D60: 822F2F80
	s_load_dword s5, s[46:47], 0x0                             // 000000002D64: C0020157 00000000
	s_mul_i32 s60, s3, 32                                      // 000000002D6C: 923CA003
	s_mul_i32 s60, 4, s60                                      // 000000002D70: 923C3C84
	v_and_b32_e32 v50, 15, v0                                  // 000000002D74: 2664008F
	v_lshlrev_b32_e32 v50, 2, v50                              // 000000002D78: 24646482
	v_add_u32_e32 v50, s60, v50                                // 000000002D7C: 6864643C
	v_mov_b32_e32 v51, 0                                       // 000000002D80: 7E660280
	global_load_dword v6, v50, s[44:45]                        // 000000002D84: DC508000 062C0032
	v_add_u32_e32 v50, 64, v50                                 // 000000002D8C: 686464C0
	global_load_dword v7, v50, s[44:45]                        // 000000002D90: DC508000 072C0032
	s_mul_i32 s60, s3, 32                                      // 000000002D98: 923CA003
	s_add_u32 s60, s7, s60                                     // 000000002D9C: 803C3C07
	s_mul_i32 s60, 4, s60                                      // 000000002DA0: 923C3C84
	s_add_u32 s44, s60, s44                                    // 000000002DA4: 802C2C3C
	s_addc_u32 s45, 0, s45                                     // 000000002DA8: 822D2D80
	s_load_dword s82, s[44:45], 0x0                            // 000000002DAC: C0021496 00000000
	s_load_dword s83, s[44:45], 0x10                           // 000000002DB4: C00214D6 00000010
	s_load_dword s84, s[44:45], 0x20                           // 000000002DBC: C0021516 00000020
	s_load_dword s85, s[44:45], 0x30                           // 000000002DC4: C0021556 00000030
	s_load_dword s86, s[44:45], 0x40                           // 000000002DCC: C0021596 00000040
	s_load_dword s87, s[44:45], 0x50                           // 000000002DD4: C00215D6 00000050
	s_load_dword s88, s[44:45], 0x60                           // 000000002DDC: C0021616 00000060
	s_load_dword s89, s[44:45], 0x70                           // 000000002DE4: C0021656 00000070
	s_waitcnt lgkmcnt(0)                                       // 000000002DEC: BF8CC07F
	v_lshlrev_b32_e32 v50, 2, v0                               // 000000002DF0: 24640082
	s_and_b32 s82, s82, 0xffffff                               // 000000002DF4: 8652FF52 00FFFFFF
	s_mul_i32 s60, s82, s68                                    // 000000002DFC: 923C4452
	v_add_u32_e64 v26, v50, s60                                // 000000002E00: D134001A 00007932
	s_and_b32 s83, s83, 0xffffff                               // 000000002E08: 8653FF53 00FFFFFF
	s_mul_i32 s60, s83, s68                                    // 000000002E10: 923C4453
	v_add_u32_e64 v27, v50, s60                                // 000000002E14: D134001B 00007932
	s_and_b32 s84, s84, 0xffffff                               // 000000002E1C: 8654FF54 00FFFFFF
	s_mul_i32 s60, s84, s68                                    // 000000002E24: 923C4454
	v_add_u32_e64 v28, v50, s60                                // 000000002E28: D134001C 00007932
	s_and_b32 s85, s85, 0xffffff                               // 000000002E30: 8655FF55 00FFFFFF
	s_mul_i32 s60, s85, s68                                    // 000000002E38: 923C4455
	v_add_u32_e64 v29, v50, s60                                // 000000002E3C: D134001D 00007932
	s_and_b32 s86, s86, 0xffffff                               // 000000002E44: 8656FF56 00FFFFFF
	s_mul_i32 s60, s86, s68                                    // 000000002E4C: 923C4456
	v_add_u32_e64 v30, v50, s60                                // 000000002E50: D134001E 00007932
	s_and_b32 s87, s87, 0xffffff                               // 000000002E58: 8657FF57 00FFFFFF
	s_mul_i32 s60, s87, s68                                    // 000000002E60: 923C4457
	v_add_u32_e64 v31, v50, s60                                // 000000002E64: D134001F 00007932
	s_and_b32 s88, s88, 0xffffff                               // 000000002E6C: 8658FF58 00FFFFFF
	s_mul_i32 s60, s88, s68                                    // 000000002E74: 923C4458
	v_add_u32_e64 v32, v50, s60                                // 000000002E78: D1340020 00007932
	s_and_b32 s89, s89, 0xffffff                               // 000000002E80: 8659FF59 00FFFFFF
	s_mul_i32 s60, s89, s68                                    // 000000002E88: 923C4459
	v_add_u32_e64 v33, v50, s60                                // 000000002E8C: D1340021 00007932
	v_lshlrev_b32_e32 v50, 2, v0                               // 000000002E94: 24640082
	s_mul_i32 s60, s82, s71                                    // 000000002E98: 923C4752
	v_add_u32_e64 v80, v50, s60                                // 000000002E9C: D1340050 00007932
	v_mov_b32_e32 v81, 0                                       // 000000002EA4: 7EA20280
	s_mul_i32 s60, s83, s71                                    // 000000002EA8: 923C4753
	v_add_u32_e64 v82, v50, s60                                // 000000002EAC: D1340052 00007932
	v_mov_b32_e32 v83, 0                                       // 000000002EB4: 7EA60280
	s_mul_i32 s60, s84, s71                                    // 000000002EB8: 923C4754
	v_add_u32_e64 v84, v50, s60                                // 000000002EBC: D1340054 00007932
	v_mov_b32_e32 v85, 0                                       // 000000002EC4: 7EAA0280
	s_mul_i32 s60, s85, s71                                    // 000000002EC8: 923C4755
	v_add_u32_e64 v86, v50, s60                                // 000000002ECC: D1340056 00007932
	v_mov_b32_e32 v87, 0                                       // 000000002ED4: 7EAE0280
	s_mul_i32 s60, s86, s71                                    // 000000002ED8: 923C4756
	v_add_u32_e64 v88, v50, s60                                // 000000002EDC: D1340058 00007932
	v_mov_b32_e32 v89, 0                                       // 000000002EE4: 7EB20280
	s_mul_i32 s60, s87, s71                                    // 000000002EE8: 923C4757
	v_add_u32_e64 v90, v50, s60                                // 000000002EEC: D134005A 00007932
	v_mov_b32_e32 v91, 0                                       // 000000002EF4: 7EB60280
	s_mul_i32 s60, s88, s71                                    // 000000002EF8: 923C4758
	v_add_u32_e64 v92, v50, s60                                // 000000002EFC: D134005C 00007932
	v_mov_b32_e32 v93, 0                                       // 000000002F04: 7EBA0280
	s_mul_i32 s60, s89, s71                                    // 000000002F08: 923C4759
	v_add_u32_e64 v94, v50, s60                                // 000000002F0C: D134005E 00007932
	v_mov_b32_e32 v95, 0                                       // 000000002F14: 7EBE0280
	s_mul_i32 s60, s7, 0x820                                   // 000000002F18: 923CFF07 00000820
	s_add_u32 s50, 0, s60                                      // 000000002F20: 80323C80
	s_add_u32 s51, 0x2080, s50                                 // 000000002F24: 803332FF 00002080
	v_lshrrev_b32_e32 v50, 4, v0                               // 000000002F2C: 20640084
	v_lshlrev_b32_e32 v51, 2, v50                              // 000000002F30: 24666482
	v_and_b32_e32 v50, 15, v0                                  // 000000002F34: 2664008F
	v_lshrrev_b32_e32 v52, 2, v50                              // 000000002F38: 20686482
	v_lshlrev_b32_e32 v52, 6, v52                              // 000000002F3C: 24686886
	v_add_u32_e32 v51, v52, v51                                // 000000002F40: 68666734
	v_and_b32_e32 v50, 3, v0                                   // 000000002F44: 26640083
	v_mul_i32_i24_e32 v52, 0x208, v50                          // 000000002F48: 0C6864FF 00000208
	v_add_u32_e32 v51, v52, v51                                // 000000002F50: 68666734
	v_lshlrev_b32_e32 v2, 2, v51                               // 000000002F54: 24046682
	s_mul_i32 s60, s2, 0x140                                   // 000000002F58: 923CFF02 00000140
	s_mul_i32 s60, s60, s69                                    // 000000002F60: 923C453C
	s_mul_i32 s61, s5, s72                                     // 000000002F64: 923D4805
	s_add_u32 s60, s61, s60                                    // 000000002F68: 803C3C3D
	s_add_u32 s24, s60, s24                                    // 000000002F6C: 8018183C
	s_addc_u32 s25, 0, s25                                     // 000000002F70: 82191980
	s_mul_i32 s60, s7, 16                                      // 000000002F74: 923C9007
	s_mul_i32 s60, s60, s69                                    // 000000002F78: 923C453C
	v_lshlrev_b32_e32 v34, 4, v0                               // 000000002F7C: 24440084
	v_add_u32_e32 v34, s60, v34                                // 000000002F80: 6844443C
	s_mul_i32 s60, 64, s69                                     // 000000002F84: 923C45C0
	v_add_u32_e32 v35, s60, v34                                // 000000002F88: 6846443C
	v_add_u32_e32 v36, s60, v35                                // 000000002F8C: 6848463C
	v_add_u32_e32 v37, s60, v36                                // 000000002F90: 684A483C
	v_add_u32_e32 v38, s60, v37                                // 000000002F94: 684C4A3C
	s_mov_b32 s92, s24                                         // 000000002F98: BEDC0018
	s_mov_b32 s93, s25                                         // 000000002F9C: BEDD0019
	s_mov_b32 s94, s26                                         // 000000002FA0: BEDE001A
	s_mov_b32 s95, s27                                         // 000000002FA4: BEDF001B
	s_mul_i32 s60, s69, s65                                    // 000000002FA8: 923C4145
	s_add_u32 s92, s60, s92                                    // 000000002FAC: 805C5C3C
	s_addc_u32 s93, 0, s93                                     // 000000002FB0: 825D5D80
	s_mul_i32 s60, s2, 0x1400                                  // 000000002FB4: 923CFF02 00001400
	s_mul_i32 s61, s5, s73                                     // 000000002FBC: 923D4905
	s_add_u32 s60, s61, s60                                    // 000000002FC0: 803C3C3D
	s_add_u32 s12, s60, s12                                    // 000000002FC4: 800C0C3C
	s_addc_u32 s13, 0, s13                                     // 000000002FC8: 820D0D80
	s_mul_i32 s60, s7, 16                                      // 000000002FCC: 923C9007
	s_mul_i32 s60, s60, s70                                    // 000000002FD0: 923C463C
	v_lshlrev_b32_e32 v39, 4, v0                               // 000000002FD4: 244E0084
	v_add_u32_e32 v39, s60, v39                                // 000000002FD8: 684E4E3C
	s_mul_i32 s60, 64, s70                                     // 000000002FDC: 923C46C0
	v_add_u32_e32 v40, s60, v39                                // 000000002FE0: 68504E3C
	v_add_u32_e32 v41, s60, v40                                // 000000002FE4: 6852503C
	v_add_u32_e32 v42, s60, v41                                // 000000002FE8: 6854523C
	s_mul_i32 s60, s70, 0x100                                  // 000000002FEC: 923CFF46 00000100
	s_mov_b32 s78, 0x400                                       // 000000002FF4: BECE00FF 00000400
	s_mul_i32 s61, s78, 4                                      // 000000002FFC: 923D844E
	s_sub_u32 s56, s60, s61                                    // 000000003000: 80B83D3C
	s_mul_i32 s60, s3, 32                                      // 000000003004: 923CA003
	s_mul_i32 s60, 4, s60                                      // 000000003008: 923C3C84
	s_add_u32 s40, s60, s40                                    // 00000000300C: 8028283C
	s_addc_u32 s41, 0, s41                                     // 000000003010: 82292980
	v_and_b32_e32 v50, 15, v0                                  // 000000003014: 2664008F
	v_lshlrev_b32_e32 v8, 2, v50                               // 000000003018: 24106482
	v_add_u32_e32 v9, 64, v8                                   // 00000000301C: 681210C0
	v_lshrrev_b32_e32 v50, 4, v0                               // 000000003020: 20640084
	v_lshlrev_b32_e32 v51, 2, v50                              // 000000003024: 24666482
	v_and_b32_e32 v50, 15, v0                                  // 000000003028: 2664008F
	v_lshrrev_b32_e32 v52, 2, v50                              // 00000000302C: 20686482
	v_lshlrev_b32_e32 v52, 6, v52                              // 000000003030: 24686886
	v_add_u32_e32 v51, v52, v51                                // 000000003034: 68666734
	v_and_b32_e32 v50, 3, v0                                   // 000000003038: 26640083
	v_add_u32_e32 v51, v50, v51                                // 00000000303C: 68666732
	v_lshlrev_b32_e32 v10, 2, v51                              // 000000003040: 24146682
	v_add_u32_e32 v11, 0x400, v10                              // 000000003044: 681614FF 00000400
	s_mul_i32 s60, s7, 16                                      // 00000000304C: 923C9007
	s_mul_i32 s60, s60, 4                                      // 000000003050: 923C843C
	v_add_u32_e32 v10, s60, v10                                // 000000003054: 6814143C
	v_add_u32_e32 v11, s60, v11                                // 000000003058: 6816163C
	v_mov_b32_e32 v5, v10                                      // 00000000305C: 7E0A030A
	s_mul_i32 s60, s2, 0x140                                   // 000000003060: 923CFF02 00000140
	s_mul_i32 s60, s60, 4                                      // 000000003068: 923C843C
	s_mul_i32 s61, s5, s74                                     // 00000000306C: 923D4A05
	s_add_u32 s61, s61, s60                                    // 000000003070: 803D3C3D
	s_mul_i32 s62, s5, s76                                     // 000000003074: 923E4C05
	s_add_u32 s62, s62, s60                                    // 000000003078: 803E3C3E
	s_add_u32 s32, s61, s32                                    // 00000000307C: 8020203D
	s_addc_u32 s33, 0, s33                                     // 000000003080: 82212180
	s_add_u32 s36, s62, s36                                    // 000000003084: 8024243E
	s_addc_u32 s37, 0, s37                                     // 000000003088: 82252580
	s_mul_i32 s60, s5, s75                                     // 00000000308C: 923C4B05
	s_add_u32 s16, s60, s16                                    // 000000003090: 8010103C
	s_addc_u32 s17, 0, s17                                     // 000000003094: 82111180
	s_mov_b32 s57, 0x100                                       // 000000003098: BEB900FF 00000100
	s_mov_b32 s58, 0x1000                                      // 0000000030A0: BEBA00FF 00001000
	s_mov_b32 s79, 0x400                                       // 0000000030A8: BECF00FF 00000400
	s_mov_b32 s59, 0x200                                       // 0000000030B0: BEBB00FF 00000200
	s_mov_b32 s90, s58                                         // 0000000030B8: BEDA003A
	s_mov_b32 s52, 0x7060302                                   // 0000000030BC: BEB400FF 07060302
	s_mov_b32 s53, 0x400                                       // 0000000030C4: BEB500FF 00000400
	s_mov_b32 s54, 0x40100                                     // 0000000030CC: BEB600FF 00040100
	s_mov_b32 s55, 0x4020100                                   // 0000000030D4: BEB700FF 04020100
	s_mov_b32 s6, 0x3fb8aa3b                                   // 0000000030DC: BE8600FF 3FB8AA3B
	s_mov_b32 s77, 0xbd92220c                                  // 0000000030E4: BECD00FF BD92220C
	s_mov_b32 m0, s50                                          // 0000000030EC: BEFC0032
	v_mov_b32_e32 v1, 0xbfcc4231                               // 0000000030F0: 7E0202FF BFCC4231
	v_mov_b32_e32 v44, 0xffff0000                              // 0000000030F8: 7E5802FF FFFF0000
	v_mov_b32_e32 v45, 0x7fff0000                              // 000000003100: 7E5A02FF 7FFF0000
	v_mov_b32_e32 v46, 0x7fff                                  // 000000003108: 7E5C02FF 00007FFF
	s_waitcnt vmcnt(0) expcnt(0) lgkmcnt(0)                    // 000000003110: BF8C0000
	v_and_b32_e32 v6, 0xffffff, v6                             // 000000003114: 260C0CFF 00FFFFFF
	v_and_b32_e32 v7, 0xffffff, v7                             // 00000000311C: 260E0EFF 00FFFFFF
	v_lshlrev_b32_e32 v6, 2, v6                                // 000000003124: 240C0C82
	v_lshlrev_b32_e32 v7, 2, v7                                // 000000003128: 240E0E82
	buffer_load_dword v14, v6, s[28:31], 0 offen               // 00000000312C: E0501000 80070E06
	buffer_load_dword v15, v7, s[28:31], 0 offen               // 000000003134: E0501000 80070F07
	buffer_load_dword v16, v10, s[32:35], 0 offen              // 00000000313C: E0501000 8008100A
	buffer_load_dword v17, v11, s[32:35], 0 offen              // 000000003144: E0501000 8008110B
	s_mul_i32 s60, 4, s65                                      // 00000000314C: 923C4184
	s_add_u32 s32, s60, s32                                    // 000000003150: 8020203C
	s_addc_u32 s33, 0, s33                                     // 000000003154: 82212180
	buffer_load_dword v47, v10, s[32:35], 0 offen              // 000000003158: E0501000 80082F0A
	buffer_load_dword v48, v11, s[32:35], 0 offen              // 000000003160: E0501000 8008300B
	buffer_load_dword v20, v8, s[40:43], 0 offen               // 000000003168: E0501000 800A1408
	buffer_load_dword v21, v9, s[40:43], 0 offen               // 000000003170: E0501000 800A1509
	buffer_load_dword v26, s[20:23], 0 offen lds               // 000000003178: E0511000 8005001A
	s_add_u32 m0, 0x100, s50                                   // 000000003180: 807C32FF 00000100
	buffer_load_dword v27, s[20:23], 0 offen lds               // 000000003188: E0511000 8005001B
	s_add_u32 m0, 0x200, s50                                   // 000000003190: 807C32FF 00000200
	buffer_load_dword v28, s[20:23], 0 offen lds               // 000000003198: E0511000 8005001C
	s_add_u32 m0, 0x300, s50                                   // 0000000031A0: 807C32FF 00000300
	buffer_load_dword v29, s[20:23], 0 offen lds               // 0000000031A8: E0511000 8005001D
	s_add_u32 m0, 0x400, s50                                   // 0000000031B0: 807C32FF 00000400
	buffer_load_dword v30, s[20:23], 0 offen lds               // 0000000031B8: E0511000 8005001E
	s_add_u32 m0, 0x500, s50                                   // 0000000031C0: 807C32FF 00000500
	buffer_load_dword v31, s[20:23], 0 offen lds               // 0000000031C8: E0511000 8005001F
	s_add_u32 m0, 0x600, s50                                   // 0000000031D0: 807C32FF 00000600
	buffer_load_dword v32, s[20:23], 0 offen lds               // 0000000031D8: E0511000 80050020
	s_add_u32 m0, 0x700, s50                                   // 0000000031E0: 807C32FF 00000700
	buffer_load_dword v33, s[20:23], 0 offen lds               // 0000000031E8: E0511000 80050021
	s_add_u32 m0, 0, s51                                       // 0000000031F0: 807C3380
	s_add_u32 s20, s57, s20                                    // 0000000031F4: 80141439
	s_addc_u32 s21, 0, s21                                     // 0000000031F8: 82151580
	buffer_load_dwordx4 a[0:3], v34, s[24:27], 0 offen         // 0000000031FC: E05C1000 80860022
	buffer_load_dwordx4 a[4:7], v34, s[24:27], 0 offen offset:1024// 000000003204: E05C1400 80860422
	buffer_load_dwordx4 a[8:11], v34, s[24:27], 0 offen offset:2048// 00000000320C: E05C1800 80860822
	buffer_load_dwordx4 a[12:15], v34, s[24:27], 0 offen offset:3072// 000000003214: E05C1C00 80860C22
	buffer_load_dwordx4 a[16:19], v35, s[24:27], 0 offen       // 00000000321C: E05C1000 80861023
	buffer_load_dwordx4 a[20:23], v35, s[24:27], 0 offen offset:1024// 000000003224: E05C1400 80861423
	buffer_load_dwordx4 a[24:27], v35, s[24:27], 0 offen offset:2048// 00000000322C: E05C1800 80861823
	buffer_load_dwordx4 a[28:31], v35, s[24:27], 0 offen offset:3072// 000000003234: E05C1C00 80861C23
	buffer_load_dwordx4 a[32:35], v36, s[24:27], 0 offen       // 00000000323C: E05C1000 80862024
	buffer_load_dwordx4 a[36:39], v36, s[24:27], 0 offen offset:1024// 000000003244: E05C1400 80862424
	buffer_load_dwordx4 a[40:43], v36, s[24:27], 0 offen offset:2048// 00000000324C: E05C1800 80862824
	buffer_load_dwordx4 a[44:47], v36, s[24:27], 0 offen offset:3072// 000000003254: E05C1C00 80862C24
	buffer_load_dwordx4 a[48:51], v37, s[24:27], 0 offen       // 00000000325C: E05C1000 80863025
	buffer_load_dwordx4 a[52:55], v37, s[24:27], 0 offen offset:1024// 000000003264: E05C1400 80863425
	buffer_load_dwordx4 a[56:59], v37, s[24:27], 0 offen offset:2048// 00000000326C: E05C1800 80863825
	buffer_load_dwordx4 a[60:63], v37, s[24:27], 0 offen offset:3072// 000000003274: E05C1C00 80863C25
	buffer_load_dwordx4 a[64:67], v38, s[24:27], 0 offen       // 00000000327C: E05C1000 80864026
	buffer_load_dwordx4 a[68:71], v38, s[24:27], 0 offen offset:1024// 000000003284: E05C1400 80864426
	buffer_load_dwordx4 a[72:75], v38, s[24:27], 0 offen offset:2048// 00000000328C: E05C1800 80864826
	buffer_load_dwordx4 a[76:79], v38, s[24:27], 0 offen offset:3072// 000000003294: E05C1C00 80864C26
	s_add_u32 s24, s58, s24                                    // 00000000329C: 8018183A
	s_addc_u32 s25, 0, s25                                     // 0000000032A0: 82191980
	v_mov_b32_e32 v128, 0                                      // 0000000032A4: 7F000280
	v_mov_b32_e32 v64, 0                                       // 0000000032A8: 7E800280
	v_mov_b32_e32 v129, 0                                      // 0000000032AC: 7F020280
	v_mov_b32_e32 v65, 0                                       // 0000000032B0: 7E820280
	v_mov_b32_e32 v130, 0                                      // 0000000032B4: 7F040280
	v_mov_b32_e32 v66, 0                                       // 0000000032B8: 7E840280
	v_mov_b32_e32 v131, 0                                      // 0000000032BC: 7F060280
	v_mov_b32_e32 v67, 0                                       // 0000000032C0: 7E860280
	v_mov_b32_e32 v132, 0                                      // 0000000032C4: 7F080280
	v_mov_b32_e32 v68, 0                                       // 0000000032C8: 7E880280
	v_mov_b32_e32 v133, 0                                      // 0000000032CC: 7F0A0280
	v_mov_b32_e32 v69, 0                                       // 0000000032D0: 7E8A0280
	v_mov_b32_e32 v134, 0                                      // 0000000032D4: 7F0C0280
	v_mov_b32_e32 v70, 0                                       // 0000000032D8: 7E8C0280
	v_mov_b32_e32 v135, 0                                      // 0000000032DC: 7F0E0280
	v_mov_b32_e32 v71, 0                                       // 0000000032E0: 7E8E0280
	v_mov_b32_e32 v136, 0                                      // 0000000032E4: 7F100280
	v_mov_b32_e32 v72, 0                                       // 0000000032E8: 7E900280
	v_mov_b32_e32 v137, 0                                      // 0000000032EC: 7F120280
	v_mov_b32_e32 v73, 0                                       // 0000000032F0: 7E920280
	v_mov_b32_e32 v138, 0                                      // 0000000032F4: 7F140280
	v_mov_b32_e32 v74, 0                                       // 0000000032F8: 7E940280
	v_mov_b32_e32 v139, 0                                      // 0000000032FC: 7F160280
	v_mov_b32_e32 v75, 0                                       // 000000003300: 7E960280
	v_mov_b32_e32 v140, 0                                      // 000000003304: 7F180280
	v_mov_b32_e32 v76, 0                                       // 000000003308: 7E980280
	v_mov_b32_e32 v141, 0                                      // 00000000330C: 7F1A0280
	v_mov_b32_e32 v77, 0                                       // 000000003310: 7E9A0280
	v_mov_b32_e32 v142, 0                                      // 000000003314: 7F1C0280
	v_mov_b32_e32 v78, 0                                       // 000000003318: 7E9C0280
	v_mov_b32_e32 v143, 0                                      // 00000000331C: 7F1E0280
	v_mov_b32_e32 v79, 0                                       // 000000003320: 7E9E0280
	v_mov_b32_e32 v144, 0                                      // 000000003324: 7F200280
	v_mov_b32_e32 v80, 0                                       // 000000003328: 7EA00280
	v_mov_b32_e32 v145, 0                                      // 00000000332C: 7F220280
	v_mov_b32_e32 v81, 0                                       // 000000003330: 7EA20280
	v_mov_b32_e32 v146, 0                                      // 000000003334: 7F240280
	v_mov_b32_e32 v82, 0                                       // 000000003338: 7EA40280
	v_mov_b32_e32 v147, 0                                      // 00000000333C: 7F260280
	v_mov_b32_e32 v83, 0                                       // 000000003340: 7EA60280
	v_mov_b32_e32 v148, 0                                      // 000000003344: 7F280280
	v_mov_b32_e32 v84, 0                                       // 000000003348: 7EA80280
	v_mov_b32_e32 v149, 0                                      // 00000000334C: 7F2A0280
	v_mov_b32_e32 v85, 0                                       // 000000003350: 7EAA0280
	v_mov_b32_e32 v150, 0                                      // 000000003354: 7F2C0280
	v_mov_b32_e32 v86, 0                                       // 000000003358: 7EAC0280
	v_mov_b32_e32 v151, 0                                      // 00000000335C: 7F2E0280
	v_mov_b32_e32 v87, 0                                       // 000000003360: 7EAE0280
	v_mov_b32_e32 v152, 0                                      // 000000003364: 7F300280
	v_mov_b32_e32 v88, 0                                       // 000000003368: 7EB00280
	v_mov_b32_e32 v153, 0                                      // 00000000336C: 7F320280
	v_mov_b32_e32 v89, 0                                       // 000000003370: 7EB20280
	v_mov_b32_e32 v154, 0                                      // 000000003374: 7F340280
	v_mov_b32_e32 v90, 0                                       // 000000003378: 7EB40280
	v_mov_b32_e32 v155, 0                                      // 00000000337C: 7F360280
	v_mov_b32_e32 v91, 0                                       // 000000003380: 7EB60280
	v_mov_b32_e32 v156, 0                                      // 000000003384: 7F380280
	v_mov_b32_e32 v92, 0                                       // 000000003388: 7EB80280
	v_mov_b32_e32 v157, 0                                      // 00000000338C: 7F3A0280
	v_mov_b32_e32 v93, 0                                       // 000000003390: 7EBA0280
	v_mov_b32_e32 v158, 0                                      // 000000003394: 7F3C0280
	v_mov_b32_e32 v94, 0                                       // 000000003398: 7EBC0280
	v_mov_b32_e32 v159, 0                                      // 00000000339C: 7F3E0280
	v_mov_b32_e32 v95, 0                                       // 0000000033A0: 7EBE0280
	v_mov_b32_e32 v160, 0                                      // 0000000033A4: 7F400280
	v_mov_b32_e32 v96, 0                                       // 0000000033A8: 7EC00280
	v_mov_b32_e32 v161, 0                                      // 0000000033AC: 7F420280
	v_mov_b32_e32 v97, 0                                       // 0000000033B0: 7EC20280
	v_mov_b32_e32 v162, 0                                      // 0000000033B4: 7F440280
	v_mov_b32_e32 v98, 0                                       // 0000000033B8: 7EC40280
	v_mov_b32_e32 v163, 0                                      // 0000000033BC: 7F460280
	v_mov_b32_e32 v99, 0                                       // 0000000033C0: 7EC60280
	v_mov_b32_e32 v164, 0                                      // 0000000033C4: 7F480280
	v_mov_b32_e32 v100, 0                                      // 0000000033C8: 7EC80280
	v_mov_b32_e32 v165, 0                                      // 0000000033CC: 7F4A0280
	v_mov_b32_e32 v101, 0                                      // 0000000033D0: 7ECA0280
	v_mov_b32_e32 v166, 0                                      // 0000000033D4: 7F4C0280
	v_mov_b32_e32 v102, 0                                      // 0000000033D8: 7ECC0280
	v_mov_b32_e32 v167, 0                                      // 0000000033DC: 7F4E0280
	v_mov_b32_e32 v103, 0                                      // 0000000033E0: 7ECE0280
	v_lshrrev_b32_e32 v50, 4, v0                               // 0000000033E4: 20640084
	v_mul_i32_i24_e32 v3, 34, v50                              // 0000000033E8: 0C0664A2
	v_and_b32_e32 v50, 15, v0                                  // 0000000033EC: 2664008F
	v_mul_i32_i24_e32 v51, 2, v50                              // 0000000033F0: 0C666482
	v_add_u32_e32 v3, v51, v3                                  // 0000000033F4: 68060733
	s_mul_i32 s60, s7, 0x88                                    // 0000000033F8: 923CFF07 00000088
	v_add_u32_e32 v3, s60, v3                                  // 000000003400: 6806063C
	v_lshlrev_b32_e32 v3, 2, v3                                // 000000003404: 24060682
	v_lshrrev_b32_e32 v50, 1, v0                               // 000000003408: 20640081
	v_mul_i32_i24_e32 v4, 34, v50                              // 00000000340C: 0C0864A2
	v_and_b32_e32 v51, 1, v0                                   // 000000003410: 26660081
	v_add_u32_e32 v4, v51, v4                                  // 000000003414: 68080933
	s_mul_i32 s60, s7, 2                                       // 000000003418: 923C8207
	v_add_u32_e32 v4, s60, v4                                  // 00000000341C: 6808083C
	v_lshlrev_b32_e32 v4, 2, v4                                // 000000003420: 24080882
	s_waitcnt vmcnt(20)                                        // 000000003424: BF8C4F74
	s_barrier                                                  // 000000003428: BF8A0000
	ds_read_b128 v[168:171], v2                                // 00000000342C: D9FE0000 A8000002
	ds_read_b128 v[172:175], v2 offset:64                      // 000000003434: D9FE0040 AC000002
	ds_read_b128 v[176:179], v2 offset:128                     // 00000000343C: D9FE0080 B0000002
	ds_read_b128 v[180:183], v2 offset:192                     // 000000003444: D9FE00C0 B4000002
	ds_read_b128 v[184:187], v2 offset:1024                    // 00000000344C: D9FE0400 B8000002
	ds_read_b128 v[188:191], v2 offset:1088                    // 000000003454: D9FE0440 BC000002
	ds_read_b128 v[192:195], v2 offset:1152                    // 00000000345C: D9FE0480 C0000002
	ds_read_b128 v[196:199], v2 offset:1216                    // 000000003464: D9FE04C0 C4000002
	s_cmp_lt_i32 s7, 2                                         // 00000000346C: BF048207
	s_cbranch_scc0 label_0FFB                                  // 000000003470: BF840D9E

0000000000003474 <label_025D>:
	s_waitcnt vmcnt(12) lgkmcnt(0)                             // 000000003474: BF8C007C
	s_barrier                                                  // 000000003478: BF8A0000
	v_mfma_f32_16x16x32_fp8_fp8 v[128:131], a[0:1], v[168:169], v[128:131]// 00000000347C: D3F30080 0E035100
	v_mfma_f32_16x16x32_fp8_fp8 v[128:131], a[2:3], v[170:171], v[128:131]// 000000003484: D3F30080 0E035502
	buffer_load_dwordx4 a[80:83], v34, s[92:95], 0 offen       // 00000000348C: E05C1000 80975022
	v_mfma_f32_16x16x32_fp8_fp8 v[128:131], a[4:5], v[172:173], v[128:131]// 000000003494: D3F30080 0E035904
	v_mfma_f32_16x16x32_fp8_fp8 v[128:131], a[6:7], v[174:175], v[128:131]// 00000000349C: D3F30080 0E035D06
	buffer_load_dword v26, s[20:23], 0 offen lds               // 0000000034A4: E0511000 8005001A
	s_add_u32 m0, 0x100, s51                                   // 0000000034AC: 807C33FF 00000100
	v_mfma_f32_16x16x32_fp8_fp8 v[128:131], a[8:9], v[176:177], v[128:131]// 0000000034B4: D3F30080 0E036108
	v_mfma_f32_16x16x32_fp8_fp8 v[128:131], a[10:11], v[178:179], v[128:131]// 0000000034BC: D3F30080 0E03650A
	buffer_load_dwordx4 a[84:87], v34, s[92:95], 0 offen offset:1024// 0000000034C4: E05C1400 80975422
	v_mfma_f32_16x16x32_fp8_fp8 v[128:131], a[12:13], v[180:181], v[128:131]// 0000000034CC: D3F30080 0E03690C
	v_mfma_f32_16x16x32_fp8_fp8 v[128:131], a[14:15], v[182:183], v[128:131]// 0000000034D4: D3F30080 0E036D0E
	buffer_load_dword v27, s[20:23], 0 offen lds               // 0000000034DC: E0511000 8005001B
	s_add_u32 m0, 0x200, s51                                   // 0000000034E4: 807C33FF 00000200
	v_mfma_f32_16x16x32_fp8_fp8 v[132:135], a[0:1], v[184:185], v[132:135]// 0000000034EC: D3F30084 0E137100
	v_mfma_f32_16x16x32_fp8_fp8 v[132:135], a[2:3], v[186:187], v[132:135]// 0000000034F4: D3F30084 0E137502
	buffer_load_dwordx4 a[88:91], v34, s[92:95], 0 offen offset:2048// 0000000034FC: E05C1800 80975822
	v_mfma_f32_16x16x32_fp8_fp8 v[132:135], a[4:5], v[188:189], v[132:135]// 000000003504: D3F30084 0E137904
	v_mfma_f32_16x16x32_fp8_fp8 v[132:135], a[6:7], v[190:191], v[132:135]// 00000000350C: D3F30084 0E137D06
	buffer_load_dword v28, s[20:23], 0 offen lds               // 000000003514: E0511000 8005001C
	s_add_u32 m0, 0x300, s51                                   // 00000000351C: 807C33FF 00000300
	v_mfma_f32_16x16x32_fp8_fp8 v[132:135], a[8:9], v[192:193], v[132:135]// 000000003524: D3F30084 0E138108
	v_mfma_f32_16x16x32_fp8_fp8 v[132:135], a[10:11], v[194:195], v[132:135]// 00000000352C: D3F30084 0E13850A
	buffer_load_dwordx4 a[92:95], v34, s[92:95], 0 offen offset:3072// 000000003534: E05C1C00 80975C22
	v_mfma_f32_16x16x32_fp8_fp8 v[132:135], a[12:13], v[196:197], v[132:135]// 00000000353C: D3F30084 0E13890C
	v_mfma_f32_16x16x32_fp8_fp8 v[132:135], a[14:15], v[198:199], v[132:135]// 000000003544: D3F30084 0E138D0E
	buffer_load_dword v29, s[20:23], 0 offen lds               // 00000000354C: E0511000 8005001D
	s_add_u32 m0, 0x400, s51                                   // 000000003554: 807C33FF 00000400
	v_mfma_f32_16x16x32_fp8_fp8 v[136:139], a[16:17], v[168:169], v[136:139]// 00000000355C: D3F30088 0E235110
	v_mfma_f32_16x16x32_fp8_fp8 v[136:139], a[18:19], v[170:171], v[136:139]// 000000003564: D3F30088 0E235512
	buffer_load_dwordx4 a[96:99], v35, s[92:95], 0 offen       // 00000000356C: E05C1000 80976023
	v_mfma_f32_16x16x32_fp8_fp8 v[136:139], a[20:21], v[172:173], v[136:139]// 000000003574: D3F30088 0E235914
	v_mfma_f32_16x16x32_fp8_fp8 v[136:139], a[22:23], v[174:175], v[136:139]// 00000000357C: D3F30088 0E235D16
	buffer_load_dword v30, s[20:23], 0 offen lds               // 000000003584: E0511000 8005001E
	s_add_u32 m0, 0x500, s51                                   // 00000000358C: 807C33FF 00000500
	v_mfma_f32_16x16x32_fp8_fp8 v[136:139], a[24:25], v[176:177], v[136:139]// 000000003594: D3F30088 0E236118
	v_mfma_f32_16x16x32_fp8_fp8 v[136:139], a[26:27], v[178:179], v[136:139]// 00000000359C: D3F30088 0E23651A
	buffer_load_dwordx4 a[100:103], v35, s[92:95], 0 offen offset:1024// 0000000035A4: E05C1400 80976423
	v_mfma_f32_16x16x32_fp8_fp8 v[136:139], a[28:29], v[180:181], v[136:139]// 0000000035AC: D3F30088 0E23691C
	v_mfma_f32_16x16x32_fp8_fp8 v[136:139], a[30:31], v[182:183], v[136:139]// 0000000035B4: D3F30088 0E236D1E
	buffer_load_dword v31, s[20:23], 0 offen lds               // 0000000035BC: E0511000 8005001F
	s_add_u32 m0, 0x600, s51                                   // 0000000035C4: 807C33FF 00000600
	v_mfma_f32_16x16x32_fp8_fp8 v[140:143], a[16:17], v[184:185], v[140:143]// 0000000035CC: D3F3008C 0E337110
	v_mfma_f32_16x16x32_fp8_fp8 v[140:143], a[18:19], v[186:187], v[140:143]// 0000000035D4: D3F3008C 0E337512
	buffer_load_dwordx4 a[104:107], v35, s[92:95], 0 offen offset:2048// 0000000035DC: E05C1800 80976823
	v_mfma_f32_16x16x32_fp8_fp8 v[140:143], a[20:21], v[188:189], v[140:143]// 0000000035E4: D3F3008C 0E337914
	v_mfma_f32_16x16x32_fp8_fp8 v[140:143], a[22:23], v[190:191], v[140:143]// 0000000035EC: D3F3008C 0E337D16
	buffer_load_dword v32, s[20:23], 0 offen lds               // 0000000035F4: E0511000 80050020
	s_add_u32 m0, 0x700, s51                                   // 0000000035FC: 807C33FF 00000700
	v_mfma_f32_16x16x32_fp8_fp8 v[140:143], a[24:25], v[192:193], v[140:143]// 000000003604: D3F3008C 0E338118
	v_mfma_f32_16x16x32_fp8_fp8 v[140:143], a[26:27], v[194:195], v[140:143]// 00000000360C: D3F3008C 0E33851A
	buffer_load_dwordx4 a[108:111], v35, s[92:95], 0 offen offset:3072// 000000003614: E05C1C00 80976C23
	v_mfma_f32_16x16x32_fp8_fp8 v[140:143], a[28:29], v[196:197], v[140:143]// 00000000361C: D3F3008C 0E33891C
	v_mfma_f32_16x16x32_fp8_fp8 v[140:143], a[30:31], v[198:199], v[140:143]// 000000003624: D3F3008C 0E338D1E
	buffer_load_dword v33, s[20:23], 0 offen lds               // 00000000362C: E0511000 80050021
	s_add_u32 m0, 0, s50                                       // 000000003634: 807C3280
	s_waitcnt vmcnt(24)                                        // 000000003638: BF8C4F78
	v_mfma_f32_16x16x32_fp8_fp8 v[144:147], a[32:33], v[168:169], v[144:147]// 00000000363C: D3F30090 0E435120
	v_mfma_f32_16x16x32_fp8_fp8 v[144:147], a[34:35], v[170:171], v[144:147]// 000000003644: D3F30090 0E435522
	buffer_load_dwordx4 a[112:115], v36, s[92:95], 0 offen     // 00000000364C: E05C1000 80977024
	v_mfma_f32_16x16x32_fp8_fp8 v[144:147], a[36:37], v[172:173], v[144:147]// 000000003654: D3F30090 0E435924
	v_mfma_f32_16x16x32_fp8_fp8 v[144:147], a[38:39], v[174:175], v[144:147]// 00000000365C: D3F30090 0E435D26
	v_mfma_f32_16x16x32_fp8_fp8 v[144:147], a[40:41], v[176:177], v[144:147]// 000000003664: D3F30090 0E436128
	v_mfma_f32_16x16x32_fp8_fp8 v[144:147], a[42:43], v[178:179], v[144:147]// 00000000366C: D3F30090 0E43652A
	buffer_load_dwordx4 a[116:119], v36, s[92:95], 0 offen offset:1024// 000000003674: E05C1400 80977424
	v_mfma_f32_16x16x32_fp8_fp8 v[144:147], a[44:45], v[180:181], v[144:147]// 00000000367C: D3F30090 0E43692C
	v_mfma_f32_16x16x32_fp8_fp8 v[144:147], a[46:47], v[182:183], v[144:147]// 000000003684: D3F30090 0E436D2E
	v_mfma_f32_16x16x32_fp8_fp8 v[148:151], a[32:33], v[184:185], v[148:151]// 00000000368C: D3F30094 0E537120
	v_mfma_f32_16x16x32_fp8_fp8 v[148:151], a[34:35], v[186:187], v[148:151]// 000000003694: D3F30094 0E537522
	buffer_load_dwordx4 a[120:123], v36, s[92:95], 0 offen offset:2048// 00000000369C: E05C1800 80977824
	v_mfma_f32_16x16x32_fp8_fp8 v[148:151], a[36:37], v[188:189], v[148:151]// 0000000036A4: D3F30094 0E537924
	v_mfma_f32_16x16x32_fp8_fp8 v[148:151], a[38:39], v[190:191], v[148:151]// 0000000036AC: D3F30094 0E537D26
	v_mfma_f32_16x16x32_fp8_fp8 v[148:151], a[40:41], v[192:193], v[148:151]// 0000000036B4: D3F30094 0E538128
	v_mfma_f32_16x16x32_fp8_fp8 v[148:151], a[42:43], v[194:195], v[148:151]// 0000000036BC: D3F30094 0E53852A
	buffer_load_dwordx4 a[124:127], v36, s[92:95], 0 offen offset:3072// 0000000036C4: E05C1C00 80977C24
	v_mfma_f32_16x16x32_fp8_fp8 v[148:151], a[44:45], v[196:197], v[148:151]// 0000000036CC: D3F30094 0E53892C
	v_mfma_f32_16x16x32_fp8_fp8 v[148:151], a[46:47], v[198:199], v[148:151]// 0000000036D4: D3F30094 0E538D2E
	s_waitcnt vmcnt(24)                                        // 0000000036DC: BF8C4F78
	v_mfma_f32_16x16x32_fp8_fp8 v[152:155], a[48:49], v[168:169], v[152:155]// 0000000036E0: D3F30098 0E635130
	v_mfma_f32_16x16x32_fp8_fp8 v[152:155], a[50:51], v[170:171], v[152:155]// 0000000036E8: D3F30098 0E635532
	buffer_load_dwordx4 a[128:131], v37, s[92:95], 0 offen     // 0000000036F0: E05C1000 80978025
	v_mfma_f32_16x16x32_fp8_fp8 v[152:155], a[52:53], v[172:173], v[152:155]// 0000000036F8: D3F30098 0E635934
	v_mfma_f32_16x16x32_fp8_fp8 v[152:155], a[54:55], v[174:175], v[152:155]// 000000003700: D3F30098 0E635D36
	v_mfma_f32_16x16x32_fp8_fp8 v[152:155], a[56:57], v[176:177], v[152:155]// 000000003708: D3F30098 0E636138
	v_mfma_f32_16x16x32_fp8_fp8 v[152:155], a[58:59], v[178:179], v[152:155]// 000000003710: D3F30098 0E63653A
	buffer_load_dwordx4 a[132:135], v37, s[92:95], 0 offen offset:1024// 000000003718: E05C1400 80978425
	v_mfma_f32_16x16x32_fp8_fp8 v[152:155], a[60:61], v[180:181], v[152:155]// 000000003720: D3F30098 0E63693C
	v_mfma_f32_16x16x32_fp8_fp8 v[152:155], a[62:63], v[182:183], v[152:155]// 000000003728: D3F30098 0E636D3E
	v_mfma_f32_16x16x32_fp8_fp8 v[156:159], a[48:49], v[184:185], v[156:159]// 000000003730: D3F3009C 0E737130
	v_mfma_f32_16x16x32_fp8_fp8 v[156:159], a[50:51], v[186:187], v[156:159]// 000000003738: D3F3009C 0E737532
	buffer_load_dwordx4 a[136:139], v37, s[92:95], 0 offen offset:2048// 000000003740: E05C1800 80978825
	v_mfma_f32_16x16x32_fp8_fp8 v[156:159], a[52:53], v[188:189], v[156:159]// 000000003748: D3F3009C 0E737934
	v_mfma_f32_16x16x32_fp8_fp8 v[156:159], a[54:55], v[190:191], v[156:159]// 000000003750: D3F3009C 0E737D36
	v_mfma_f32_16x16x32_fp8_fp8 v[156:159], a[56:57], v[192:193], v[156:159]// 000000003758: D3F3009C 0E738138
	v_mfma_f32_16x16x32_fp8_fp8 v[156:159], a[58:59], v[194:195], v[156:159]// 000000003760: D3F3009C 0E73853A
	buffer_load_dwordx4 a[140:143], v37, s[92:95], 0 offen offset:3072// 000000003768: E05C1C00 80978C25
	v_mfma_f32_16x16x32_fp8_fp8 v[156:159], a[60:61], v[196:197], v[156:159]// 000000003770: D3F3009C 0E73893C
	v_mfma_f32_16x16x32_fp8_fp8 v[156:159], a[62:63], v[198:199], v[156:159]// 000000003778: D3F3009C 0E738D3E
	s_waitcnt vmcnt(24)                                        // 000000003780: BF8C4F78
	v_mfma_f32_16x16x32_fp8_fp8 v[160:163], a[64:65], v[168:169], v[160:163]// 000000003784: D3F300A0 0E835140
	v_mfma_f32_16x16x32_fp8_fp8 v[160:163], a[66:67], v[170:171], v[160:163]// 00000000378C: D3F300A0 0E835542
	buffer_load_dwordx4 a[144:147], v38, s[92:95], 0 offen     // 000000003794: E05C1000 80979026
	v_mfma_f32_16x16x32_fp8_fp8 v[160:163], a[68:69], v[172:173], v[160:163]// 00000000379C: D3F300A0 0E835944
	v_mfma_f32_16x16x32_fp8_fp8 v[160:163], a[70:71], v[174:175], v[160:163]// 0000000037A4: D3F300A0 0E835D46
	v_mfma_f32_16x16x32_fp8_fp8 v[160:163], a[72:73], v[176:177], v[160:163]// 0000000037AC: D3F300A0 0E836148
	v_mfma_f32_16x16x32_fp8_fp8 v[160:163], a[74:75], v[178:179], v[160:163]// 0000000037B4: D3F300A0 0E83654A
	buffer_load_dwordx4 a[148:151], v38, s[92:95], 0 offen offset:1024// 0000000037BC: E05C1400 80979426
	v_mfma_f32_16x16x32_fp8_fp8 v[160:163], a[76:77], v[180:181], v[160:163]// 0000000037C4: D3F300A0 0E83694C
	v_mfma_f32_16x16x32_fp8_fp8 v[160:163], a[78:79], v[182:183], v[160:163]// 0000000037CC: D3F300A0 0E836D4E
	v_mfma_f32_16x16x32_fp8_fp8 v[164:167], a[64:65], v[184:185], v[164:167]// 0000000037D4: D3F300A4 0E937140
	v_mfma_f32_16x16x32_fp8_fp8 v[164:167], a[66:67], v[186:187], v[164:167]// 0000000037DC: D3F300A4 0E937542
	buffer_load_dwordx4 a[152:155], v38, s[92:95], 0 offen offset:2048// 0000000037E4: E05C1800 80979826
	v_mfma_f32_16x16x32_fp8_fp8 v[164:167], a[68:69], v[188:189], v[164:167]// 0000000037EC: D3F300A4 0E937944
	v_mfma_f32_16x16x32_fp8_fp8 v[164:167], a[70:71], v[190:191], v[164:167]// 0000000037F4: D3F300A4 0E937D46
	v_mfma_f32_16x16x32_fp8_fp8 v[164:167], a[72:73], v[192:193], v[164:167]// 0000000037FC: D3F300A4 0E938148
	v_mfma_f32_16x16x32_fp8_fp8 v[164:167], a[74:75], v[194:195], v[164:167]// 000000003804: D3F300A4 0E93854A
	buffer_load_dwordx4 a[156:159], v38, s[92:95], 0 offen offset:3072// 00000000380C: E05C1C00 80979C26
	v_mfma_f32_16x16x32_fp8_fp8 v[164:167], a[76:77], v[196:197], v[164:167]// 000000003814: D3F300A4 0E93894C
	v_mfma_f32_16x16x32_fp8_fp8 v[164:167], a[78:79], v[198:199], v[164:167]// 00000000381C: D3F300A4 0E938D4E
	s_waitcnt vmcnt(12)                                        // 000000003824: BF8C0F7C
	s_barrier                                                  // 000000003828: BF8A0000
	v_mfma_f32_16x16x32_fp8_fp8 v[64:67], a[80:81], v[168:169], v[64:67]// 00000000382C: D3F30040 0D035150
	v_mfma_f32_16x16x32_fp8_fp8 v[64:67], a[82:83], v[170:171], v[64:67]// 000000003834: D3F30040 0D035552
	buffer_load_dwordx4 a[0:3], v34, s[24:27], 0 offen         // 00000000383C: E05C1000 80860022
	v_mfma_f32_16x16x32_fp8_fp8 v[64:67], a[84:85], v[172:173], v[64:67]// 000000003844: D3F30040 0D035954
	v_mfma_f32_16x16x32_fp8_fp8 v[64:67], a[86:87], v[174:175], v[64:67]// 00000000384C: D3F30040 0D035D56
	v_mfma_f32_16x16x32_fp8_fp8 v[64:67], a[88:89], v[176:177], v[64:67]// 000000003854: D3F30040 0D036158
	v_mfma_f32_16x16x32_fp8_fp8 v[64:67], a[90:91], v[178:179], v[64:67]// 00000000385C: D3F30040 0D03655A
	buffer_load_dwordx4 a[4:7], v34, s[24:27], 0 offen offset:1024// 000000003864: E05C1400 80860422
	v_mfma_f32_16x16x32_fp8_fp8 v[64:67], a[92:93], v[180:181], v[64:67]// 00000000386C: D3F30040 0D03695C
	v_mfma_f32_16x16x32_fp8_fp8 v[64:67], a[94:95], v[182:183], v[64:67]// 000000003874: D3F30040 0D036D5E
	v_mfma_f32_16x16x32_fp8_fp8 v[68:71], a[80:81], v[184:185], v[68:71]// 00000000387C: D3F30044 0D137150
	v_mfma_f32_16x16x32_fp8_fp8 v[68:71], a[82:83], v[186:187], v[68:71]// 000000003884: D3F30044 0D137552
	buffer_load_dwordx4 a[8:11], v34, s[24:27], 0 offen offset:2048// 00000000388C: E05C1800 80860822
	v_mfma_f32_16x16x32_fp8_fp8 v[68:71], a[84:85], v[188:189], v[68:71]// 000000003894: D3F30044 0D137954
	v_mfma_f32_16x16x32_fp8_fp8 v[68:71], a[86:87], v[190:191], v[68:71]// 00000000389C: D3F30044 0D137D56
	v_mfma_f32_16x16x32_fp8_fp8 v[68:71], a[88:89], v[192:193], v[68:71]// 0000000038A4: D3F30044 0D138158
	v_mfma_f32_16x16x32_fp8_fp8 v[68:71], a[90:91], v[194:195], v[68:71]// 0000000038AC: D3F30044 0D13855A
	buffer_load_dwordx4 a[12:15], v34, s[24:27], 0 offen offset:3072// 0000000038B4: E05C1C00 80860C22
	v_mfma_f32_16x16x32_fp8_fp8 v[68:71], a[92:93], v[196:197], v[68:71]// 0000000038BC: D3F30044 0D13895C
	v_mfma_f32_16x16x32_fp8_fp8 v[68:71], a[94:95], v[198:199], v[68:71]// 0000000038C4: D3F30044 0D138D5E
	v_mfma_f32_16x16x32_fp8_fp8 v[72:75], a[96:97], v[168:169], v[72:75]// 0000000038CC: D3F30048 0D235160
	v_mfma_f32_16x16x32_fp8_fp8 v[72:75], a[98:99], v[170:171], v[72:75]// 0000000038D4: D3F30048 0D235562
	buffer_load_dwordx4 a[16:19], v35, s[24:27], 0 offen       // 0000000038DC: E05C1000 80861023
	v_mfma_f32_16x16x32_fp8_fp8 v[72:75], a[100:101], v[172:173], v[72:75]// 0000000038E4: D3F30048 0D235964
	v_mfma_f32_16x16x32_fp8_fp8 v[72:75], a[102:103], v[174:175], v[72:75]// 0000000038EC: D3F30048 0D235D66
	v_mfma_f32_16x16x32_fp8_fp8 v[72:75], a[104:105], v[176:177], v[72:75]// 0000000038F4: D3F30048 0D236168
	v_mfma_f32_16x16x32_fp8_fp8 v[72:75], a[106:107], v[178:179], v[72:75]// 0000000038FC: D3F30048 0D23656A
	buffer_load_dwordx4 a[20:23], v35, s[24:27], 0 offen offset:1024// 000000003904: E05C1400 80861423
	v_mfma_f32_16x16x32_fp8_fp8 v[72:75], a[108:109], v[180:181], v[72:75]// 00000000390C: D3F30048 0D23696C
	v_mfma_f32_16x16x32_fp8_fp8 v[72:75], a[110:111], v[182:183], v[72:75]// 000000003914: D3F30048 0D236D6E
	v_mfma_f32_16x16x32_fp8_fp8 v[76:79], a[96:97], v[184:185], v[76:79]// 00000000391C: D3F3004C 0D337160
	v_mfma_f32_16x16x32_fp8_fp8 v[76:79], a[98:99], v[186:187], v[76:79]// 000000003924: D3F3004C 0D337562
	buffer_load_dwordx4 a[24:27], v35, s[24:27], 0 offen offset:2048// 00000000392C: E05C1800 80861823
	v_mfma_f32_16x16x32_fp8_fp8 v[76:79], a[100:101], v[188:189], v[76:79]// 000000003934: D3F3004C 0D337964
	v_mfma_f32_16x16x32_fp8_fp8 v[76:79], a[102:103], v[190:191], v[76:79]// 00000000393C: D3F3004C 0D337D66
	v_mfma_f32_16x16x32_fp8_fp8 v[76:79], a[104:105], v[192:193], v[76:79]// 000000003944: D3F3004C 0D338168
	v_mfma_f32_16x16x32_fp8_fp8 v[76:79], a[106:107], v[194:195], v[76:79]// 00000000394C: D3F3004C 0D33856A
	buffer_load_dwordx4 a[28:31], v35, s[24:27], 0 offen offset:3072// 000000003954: E05C1C00 80861C23
	v_mfma_f32_16x16x32_fp8_fp8 v[76:79], a[108:109], v[196:197], v[76:79]// 00000000395C: D3F3004C 0D33896C
	v_mfma_f32_16x16x32_fp8_fp8 v[76:79], a[110:111], v[198:199], v[76:79]// 000000003964: D3F3004C 0D338D6E
	s_waitcnt vmcnt(16)                                        // 00000000396C: BF8C4F70
	v_mfma_f32_16x16x32_fp8_fp8 v[80:83], a[112:113], v[168:169], v[80:83]// 000000003970: D3F30050 0D435170
	v_mfma_f32_16x16x32_fp8_fp8 v[80:83], a[114:115], v[170:171], v[80:83]// 000000003978: D3F30050 0D435572
	buffer_load_dwordx4 a[32:35], v36, s[24:27], 0 offen       // 000000003980: E05C1000 80862024
	v_mfma_f32_16x16x32_fp8_fp8 v[80:83], a[116:117], v[172:173], v[80:83]// 000000003988: D3F30050 0D435974
	v_mfma_f32_16x16x32_fp8_fp8 v[80:83], a[118:119], v[174:175], v[80:83]// 000000003990: D3F30050 0D435D76
	ds_read_b128 v[200:203], v2 offset:8320                    // 000000003998: D9FE2080 C8000002
	v_mfma_f32_16x16x32_fp8_fp8 v[80:83], a[120:121], v[176:177], v[80:83]// 0000000039A0: D3F30050 0D436178
	v_mfma_f32_16x16x32_fp8_fp8 v[80:83], a[122:123], v[178:179], v[80:83]// 0000000039A8: D3F30050 0D43657A
	buffer_load_dwordx4 a[36:39], v36, s[24:27], 0 offen offset:1024// 0000000039B0: E05C1400 80862424
	v_mfma_f32_16x16x32_fp8_fp8 v[80:83], a[124:125], v[180:181], v[80:83]// 0000000039B8: D3F30050 0D43697C
	v_mfma_f32_16x16x32_fp8_fp8 v[80:83], a[126:127], v[182:183], v[80:83]// 0000000039C0: D3F30050 0D436D7E
	ds_read_b128 v[204:207], v2 offset:8384                    // 0000000039C8: D9FE20C0 CC000002
	v_mfma_f32_16x16x32_fp8_fp8 v[84:87], a[112:113], v[184:185], v[84:87]// 0000000039D0: D3F30054 0D537170
	v_mfma_f32_16x16x32_fp8_fp8 v[84:87], a[114:115], v[186:187], v[84:87]// 0000000039D8: D3F30054 0D537572
	buffer_load_dwordx4 a[40:43], v36, s[24:27], 0 offen offset:2048// 0000000039E0: E05C1800 80862824
	v_mfma_f32_16x16x32_fp8_fp8 v[84:87], a[116:117], v[188:189], v[84:87]// 0000000039E8: D3F30054 0D537974
	v_mfma_f32_16x16x32_fp8_fp8 v[84:87], a[118:119], v[190:191], v[84:87]// 0000000039F0: D3F30054 0D537D76
	ds_read_b128 v[208:211], v2 offset:8448                    // 0000000039F8: D9FE2100 D0000002
	v_mfma_f32_16x16x32_fp8_fp8 v[84:87], a[120:121], v[192:193], v[84:87]// 000000003A00: D3F30054 0D538178
	v_mfma_f32_16x16x32_fp8_fp8 v[84:87], a[122:123], v[194:195], v[84:87]// 000000003A08: D3F30054 0D53857A
	buffer_load_dwordx4 a[44:47], v36, s[24:27], 0 offen offset:3072// 000000003A10: E05C1C00 80862C24
	v_mfma_f32_16x16x32_fp8_fp8 v[84:87], a[124:125], v[196:197], v[84:87]// 000000003A18: D3F30054 0D53897C
	v_mfma_f32_16x16x32_fp8_fp8 v[84:87], a[126:127], v[198:199], v[84:87]// 000000003A20: D3F30054 0D538D7E
	ds_read_b128 v[212:215], v2 offset:8512                    // 000000003A28: D9FE2140 D4000002
	s_waitcnt vmcnt(16)                                        // 000000003A30: BF8C4F70
	v_mfma_f32_16x16x32_fp8_fp8 v[88:91], a[128:129], v[168:169], v[88:91]// 000000003A34: D3F30058 0D635180
	v_mfma_f32_16x16x32_fp8_fp8 v[88:91], a[130:131], v[170:171], v[88:91]// 000000003A3C: D3F30058 0D635582
	buffer_load_dwordx4 a[48:51], v37, s[24:27], 0 offen       // 000000003A44: E05C1000 80863025
	v_mfma_f32_16x16x32_fp8_fp8 v[88:91], a[132:133], v[172:173], v[88:91]// 000000003A4C: D3F30058 0D635984
	v_mfma_f32_16x16x32_fp8_fp8 v[88:91], a[134:135], v[174:175], v[88:91]// 000000003A54: D3F30058 0D635D86
	ds_read_b128 v[216:219], v2 offset:9344                    // 000000003A5C: D9FE2480 D8000002
	v_mfma_f32_16x16x32_fp8_fp8 v[88:91], a[136:137], v[176:177], v[88:91]// 000000003A64: D3F30058 0D636188
	v_mfma_f32_16x16x32_fp8_fp8 v[88:91], a[138:139], v[178:179], v[88:91]// 000000003A6C: D3F30058 0D63658A
	buffer_load_dwordx4 a[52:55], v37, s[24:27], 0 offen offset:1024// 000000003A74: E05C1400 80863425
	v_mfma_f32_16x16x32_fp8_fp8 v[88:91], a[140:141], v[180:181], v[88:91]// 000000003A7C: D3F30058 0D63698C
	v_mfma_f32_16x16x32_fp8_fp8 v[88:91], a[142:143], v[182:183], v[88:91]// 000000003A84: D3F30058 0D636D8E
	ds_read_b128 v[220:223], v2 offset:9408                    // 000000003A8C: D9FE24C0 DC000002
	v_mfma_f32_16x16x32_fp8_fp8 v[92:95], a[128:129], v[184:185], v[92:95]// 000000003A94: D3F3005C 0D737180
	v_mfma_f32_16x16x32_fp8_fp8 v[92:95], a[130:131], v[186:187], v[92:95]// 000000003A9C: D3F3005C 0D737582
	buffer_load_dwordx4 a[56:59], v37, s[24:27], 0 offen offset:2048// 000000003AA4: E05C1800 80863825
	v_mfma_f32_16x16x32_fp8_fp8 v[92:95], a[132:133], v[188:189], v[92:95]// 000000003AAC: D3F3005C 0D737984
	v_mfma_f32_16x16x32_fp8_fp8 v[92:95], a[134:135], v[190:191], v[92:95]// 000000003AB4: D3F3005C 0D737D86
	ds_read_b128 v[224:227], v2 offset:9472                    // 000000003ABC: D9FE2500 E0000002
	v_mfma_f32_16x16x32_fp8_fp8 v[92:95], a[136:137], v[192:193], v[92:95]// 000000003AC4: D3F3005C 0D738188
	v_mfma_f32_16x16x32_fp8_fp8 v[92:95], a[138:139], v[194:195], v[92:95]// 000000003ACC: D3F3005C 0D73858A
	buffer_load_dwordx4 a[60:63], v37, s[24:27], 0 offen offset:3072// 000000003AD4: E05C1C00 80863C25
	v_mfma_f32_16x16x32_fp8_fp8 v[92:95], a[140:141], v[196:197], v[92:95]// 000000003ADC: D3F3005C 0D73898C
	v_mfma_f32_16x16x32_fp8_fp8 v[92:95], a[142:143], v[198:199], v[92:95]// 000000003AE4: D3F3005C 0D738D8E
	ds_read_b128 v[228:231], v2 offset:9536                    // 000000003AEC: D9FE2540 E4000002
	s_waitcnt vmcnt(16)                                        // 000000003AF4: BF8C4F70
	v_mfma_f32_16x16x32_fp8_fp8 v[96:99], a[144:145], v[168:169], v[96:99]// 000000003AF8: D3F30060 0D835190
	v_mfma_f32_16x16x32_fp8_fp8 v[96:99], a[146:147], v[170:171], v[96:99]// 000000003B00: D3F30060 0D835592
	buffer_load_dwordx4 a[64:67], v38, s[24:27], 0 offen       // 000000003B08: E05C1000 80864026
	v_mfma_f32_16x16x32_fp8_fp8 v[96:99], a[148:149], v[172:173], v[96:99]// 000000003B10: D3F30060 0D835994
	v_mfma_f32_16x16x32_fp8_fp8 v[96:99], a[150:151], v[174:175], v[96:99]// 000000003B18: D3F30060 0D835D96
	v_mfma_f32_16x16x32_fp8_fp8 v[96:99], a[152:153], v[176:177], v[96:99]// 000000003B20: D3F30060 0D836198
	v_mfma_f32_16x16x32_fp8_fp8 v[96:99], a[154:155], v[178:179], v[96:99]// 000000003B28: D3F30060 0D83659A
	buffer_load_dwordx4 a[68:71], v38, s[24:27], 0 offen offset:1024// 000000003B30: E05C1400 80864426
	v_mfma_f32_16x16x32_fp8_fp8 v[96:99], a[156:157], v[180:181], v[96:99]// 000000003B38: D3F30060 0D83699C
	v_mfma_f32_16x16x32_fp8_fp8 v[96:99], a[158:159], v[182:183], v[96:99]// 000000003B40: D3F30060 0D836D9E
	v_mfma_f32_16x16x32_fp8_fp8 v[100:103], a[144:145], v[184:185], v[100:103]// 000000003B48: D3F30064 0D937190
	v_mfma_f32_16x16x32_fp8_fp8 v[100:103], a[146:147], v[186:187], v[100:103]// 000000003B50: D3F30064 0D937592
	buffer_load_dwordx4 a[72:75], v38, s[24:27], 0 offen offset:2048// 000000003B58: E05C1800 80864826
	v_mfma_f32_16x16x32_fp8_fp8 v[100:103], a[148:149], v[188:189], v[100:103]// 000000003B60: D3F30064 0D937994
	v_mfma_f32_16x16x32_fp8_fp8 v[100:103], a[150:151], v[190:191], v[100:103]// 000000003B68: D3F30064 0D937D96
	v_mfma_f32_16x16x32_fp8_fp8 v[100:103], a[152:153], v[192:193], v[100:103]// 000000003B70: D3F30064 0D938198
	v_mfma_f32_16x16x32_fp8_fp8 v[100:103], a[154:155], v[194:195], v[100:103]// 000000003B78: D3F30064 0D93859A
	buffer_load_dwordx4 a[76:79], v38, s[24:27], 0 offen offset:3072// 000000003B80: E05C1C00 80864C26
	v_mfma_f32_16x16x32_fp8_fp8 v[100:103], a[156:157], v[196:197], v[100:103]// 000000003B88: D3F30064 0D93899C
	v_mfma_f32_16x16x32_fp8_fp8 v[100:103], a[158:159], v[198:199], v[100:103]// 000000003B90: D3F30064 0D938D9E
	s_add_u32 s60, 0x200, s80                                  // 000000003B98: 803C50FF 00000200
	s_cmp_lt_u32 s60, s81                                      // 000000003BA0: BF0A513C
	s_cselect_b32 s57, s57, 0                                  // 000000003BA4: 85398039
	s_add_u32 s60, 0x200, s80                                  // 000000003BA8: 803C50FF 00000200
	s_cmp_lt_u32 s60, s81                                      // 000000003BB0: BF0A513C
	s_cselect_b32 s58, s58, 0                                  // 000000003BB4: 853A803A
	s_add_u32 s20, s57, s20                                    // 000000003BB8: 80141439
	s_addc_u32 s21, 0, s21                                     // 000000003BBC: 82151580
	s_add_u32 s24, s58, s24                                    // 000000003BC0: 8018183A
	s_addc_u32 s25, 0, s25                                     // 000000003BC4: 82191980
	s_add_u32 s92, s90, s92                                    // 000000003BC8: 805C5C5A
	s_addc_u32 s93, 0, s93                                     // 000000003BCC: 825D5D80
	s_addk_i32 s80, 0x100                                      // 000000003BD0: B7500100
	s_cmp_lt_i32 s80, s81                                      // 000000003BD4: BF045150
	s_cbranch_scc0 label_0612                                  // 000000003BD8: BF8401DB
	s_waitcnt vmcnt(12) lgkmcnt(0)                             // 000000003BDC: BF8C007C
	s_barrier                                                  // 000000003BE0: BF8A0000
	v_mfma_f32_16x16x32_fp8_fp8 v[128:131], a[0:1], v[200:201], v[128:131]// 000000003BE4: D3F30080 0E039100
	v_mfma_f32_16x16x32_fp8_fp8 v[128:131], a[2:3], v[202:203], v[128:131]// 000000003BEC: D3F30080 0E039502
	buffer_load_dwordx4 a[80:83], v34, s[92:95], 0 offen       // 000000003BF4: E05C1000 80975022
	v_mfma_f32_16x16x32_fp8_fp8 v[128:131], a[4:5], v[204:205], v[128:131]// 000000003BFC: D3F30080 0E039904
	v_mfma_f32_16x16x32_fp8_fp8 v[128:131], a[6:7], v[206:207], v[128:131]// 000000003C04: D3F30080 0E039D06
	buffer_load_dword v26, s[20:23], 0 offen lds               // 000000003C0C: E0511000 8005001A
	s_add_u32 m0, 0x100, s50                                   // 000000003C14: 807C32FF 00000100
	v_mfma_f32_16x16x32_fp8_fp8 v[128:131], a[8:9], v[208:209], v[128:131]// 000000003C1C: D3F30080 0E03A108
	v_mfma_f32_16x16x32_fp8_fp8 v[128:131], a[10:11], v[210:211], v[128:131]// 000000003C24: D3F30080 0E03A50A
	buffer_load_dwordx4 a[84:87], v34, s[92:95], 0 offen offset:1024// 000000003C2C: E05C1400 80975422
	v_mfma_f32_16x16x32_fp8_fp8 v[128:131], a[12:13], v[212:213], v[128:131]// 000000003C34: D3F30080 0E03A90C
	v_mfma_f32_16x16x32_fp8_fp8 v[128:131], a[14:15], v[214:215], v[128:131]// 000000003C3C: D3F30080 0E03AD0E
	buffer_load_dword v27, s[20:23], 0 offen lds               // 000000003C44: E0511000 8005001B
	s_add_u32 m0, 0x200, s50                                   // 000000003C4C: 807C32FF 00000200
	v_mfma_f32_16x16x32_fp8_fp8 v[132:135], a[0:1], v[216:217], v[132:135]// 000000003C54: D3F30084 0E13B100
	v_mfma_f32_16x16x32_fp8_fp8 v[132:135], a[2:3], v[218:219], v[132:135]// 000000003C5C: D3F30084 0E13B502
	buffer_load_dwordx4 a[88:91], v34, s[92:95], 0 offen offset:2048// 000000003C64: E05C1800 80975822
	v_mfma_f32_16x16x32_fp8_fp8 v[132:135], a[4:5], v[220:221], v[132:135]// 000000003C6C: D3F30084 0E13B904
	v_mfma_f32_16x16x32_fp8_fp8 v[132:135], a[6:7], v[222:223], v[132:135]// 000000003C74: D3F30084 0E13BD06
	buffer_load_dword v28, s[20:23], 0 offen lds               // 000000003C7C: E0511000 8005001C
	s_add_u32 m0, 0x300, s50                                   // 000000003C84: 807C32FF 00000300
	v_mfma_f32_16x16x32_fp8_fp8 v[132:135], a[8:9], v[224:225], v[132:135]// 000000003C8C: D3F30084 0E13C108
	v_mfma_f32_16x16x32_fp8_fp8 v[132:135], a[10:11], v[226:227], v[132:135]// 000000003C94: D3F30084 0E13C50A
	buffer_load_dwordx4 a[92:95], v34, s[92:95], 0 offen offset:3072// 000000003C9C: E05C1C00 80975C22
	v_mfma_f32_16x16x32_fp8_fp8 v[132:135], a[12:13], v[228:229], v[132:135]// 000000003CA4: D3F30084 0E13C90C
	v_mfma_f32_16x16x32_fp8_fp8 v[132:135], a[14:15], v[230:231], v[132:135]// 000000003CAC: D3F30084 0E13CD0E
	buffer_load_dword v29, s[20:23], 0 offen lds               // 000000003CB4: E0511000 8005001D
	s_add_u32 m0, 0x400, s50                                   // 000000003CBC: 807C32FF 00000400
	v_mfma_f32_16x16x32_fp8_fp8 v[136:139], a[16:17], v[200:201], v[136:139]// 000000003CC4: D3F30088 0E239110
	v_mfma_f32_16x16x32_fp8_fp8 v[136:139], a[18:19], v[202:203], v[136:139]// 000000003CCC: D3F30088 0E239512
	buffer_load_dwordx4 a[96:99], v35, s[92:95], 0 offen       // 000000003CD4: E05C1000 80976023
	v_mfma_f32_16x16x32_fp8_fp8 v[136:139], a[20:21], v[204:205], v[136:139]// 000000003CDC: D3F30088 0E239914
	v_mfma_f32_16x16x32_fp8_fp8 v[136:139], a[22:23], v[206:207], v[136:139]// 000000003CE4: D3F30088 0E239D16
	buffer_load_dword v30, s[20:23], 0 offen lds               // 000000003CEC: E0511000 8005001E
	s_add_u32 m0, 0x500, s50                                   // 000000003CF4: 807C32FF 00000500
	v_mfma_f32_16x16x32_fp8_fp8 v[136:139], a[24:25], v[208:209], v[136:139]// 000000003CFC: D3F30088 0E23A118
	v_mfma_f32_16x16x32_fp8_fp8 v[136:139], a[26:27], v[210:211], v[136:139]// 000000003D04: D3F30088 0E23A51A
	buffer_load_dwordx4 a[100:103], v35, s[92:95], 0 offen offset:1024// 000000003D0C: E05C1400 80976423
	v_mfma_f32_16x16x32_fp8_fp8 v[136:139], a[28:29], v[212:213], v[136:139]// 000000003D14: D3F30088 0E23A91C
	v_mfma_f32_16x16x32_fp8_fp8 v[136:139], a[30:31], v[214:215], v[136:139]// 000000003D1C: D3F30088 0E23AD1E
	buffer_load_dword v31, s[20:23], 0 offen lds               // 000000003D24: E0511000 8005001F
	s_add_u32 m0, 0x600, s50                                   // 000000003D2C: 807C32FF 00000600
	v_mfma_f32_16x16x32_fp8_fp8 v[140:143], a[16:17], v[216:217], v[140:143]// 000000003D34: D3F3008C 0E33B110
	v_mfma_f32_16x16x32_fp8_fp8 v[140:143], a[18:19], v[218:219], v[140:143]// 000000003D3C: D3F3008C 0E33B512
	buffer_load_dwordx4 a[104:107], v35, s[92:95], 0 offen offset:2048// 000000003D44: E05C1800 80976823
	v_mfma_f32_16x16x32_fp8_fp8 v[140:143], a[20:21], v[220:221], v[140:143]// 000000003D4C: D3F3008C 0E33B914
	v_mfma_f32_16x16x32_fp8_fp8 v[140:143], a[22:23], v[222:223], v[140:143]// 000000003D54: D3F3008C 0E33BD16
	buffer_load_dword v32, s[20:23], 0 offen lds               // 000000003D5C: E0511000 80050020
	s_add_u32 m0, 0x700, s50                                   // 000000003D64: 807C32FF 00000700
	v_mfma_f32_16x16x32_fp8_fp8 v[140:143], a[24:25], v[224:225], v[140:143]// 000000003D6C: D3F3008C 0E33C118
	v_mfma_f32_16x16x32_fp8_fp8 v[140:143], a[26:27], v[226:227], v[140:143]// 000000003D74: D3F3008C 0E33C51A
	buffer_load_dwordx4 a[108:111], v35, s[92:95], 0 offen offset:3072// 000000003D7C: E05C1C00 80976C23
	v_mfma_f32_16x16x32_fp8_fp8 v[140:143], a[28:29], v[228:229], v[140:143]// 000000003D84: D3F3008C 0E33C91C
	v_mfma_f32_16x16x32_fp8_fp8 v[140:143], a[30:31], v[230:231], v[140:143]// 000000003D8C: D3F3008C 0E33CD1E
	buffer_load_dword v33, s[20:23], 0 offen lds               // 000000003D94: E0511000 80050021
	s_add_u32 m0, 0, s51                                       // 000000003D9C: 807C3380
	s_waitcnt vmcnt(24)                                        // 000000003DA0: BF8C4F78
	v_mfma_f32_16x16x32_fp8_fp8 v[144:147], a[32:33], v[200:201], v[144:147]// 000000003DA4: D3F30090 0E439120
	v_mfma_f32_16x16x32_fp8_fp8 v[144:147], a[34:35], v[202:203], v[144:147]// 000000003DAC: D3F30090 0E439522
	buffer_load_dwordx4 a[112:115], v36, s[92:95], 0 offen     // 000000003DB4: E05C1000 80977024
	v_mfma_f32_16x16x32_fp8_fp8 v[144:147], a[36:37], v[204:205], v[144:147]// 000000003DBC: D3F30090 0E439924
	v_mfma_f32_16x16x32_fp8_fp8 v[144:147], a[38:39], v[206:207], v[144:147]// 000000003DC4: D3F30090 0E439D26
	v_mfma_f32_16x16x32_fp8_fp8 v[144:147], a[40:41], v[208:209], v[144:147]// 000000003DCC: D3F30090 0E43A128
	v_mfma_f32_16x16x32_fp8_fp8 v[144:147], a[42:43], v[210:211], v[144:147]// 000000003DD4: D3F30090 0E43A52A
	buffer_load_dwordx4 a[116:119], v36, s[92:95], 0 offen offset:1024// 000000003DDC: E05C1400 80977424
	v_mfma_f32_16x16x32_fp8_fp8 v[144:147], a[44:45], v[212:213], v[144:147]// 000000003DE4: D3F30090 0E43A92C
	v_mfma_f32_16x16x32_fp8_fp8 v[144:147], a[46:47], v[214:215], v[144:147]// 000000003DEC: D3F30090 0E43AD2E
	v_mfma_f32_16x16x32_fp8_fp8 v[148:151], a[32:33], v[216:217], v[148:151]// 000000003DF4: D3F30094 0E53B120
	v_mfma_f32_16x16x32_fp8_fp8 v[148:151], a[34:35], v[218:219], v[148:151]// 000000003DFC: D3F30094 0E53B522
	buffer_load_dwordx4 a[120:123], v36, s[92:95], 0 offen offset:2048// 000000003E04: E05C1800 80977824
	v_mfma_f32_16x16x32_fp8_fp8 v[148:151], a[36:37], v[220:221], v[148:151]// 000000003E0C: D3F30094 0E53B924
	v_mfma_f32_16x16x32_fp8_fp8 v[148:151], a[38:39], v[222:223], v[148:151]// 000000003E14: D3F30094 0E53BD26
	v_mfma_f32_16x16x32_fp8_fp8 v[148:151], a[40:41], v[224:225], v[148:151]// 000000003E1C: D3F30094 0E53C128
	v_mfma_f32_16x16x32_fp8_fp8 v[148:151], a[42:43], v[226:227], v[148:151]// 000000003E24: D3F30094 0E53C52A
	buffer_load_dwordx4 a[124:127], v36, s[92:95], 0 offen offset:3072// 000000003E2C: E05C1C00 80977C24
	v_mfma_f32_16x16x32_fp8_fp8 v[148:151], a[44:45], v[228:229], v[148:151]// 000000003E34: D3F30094 0E53C92C
	v_mfma_f32_16x16x32_fp8_fp8 v[148:151], a[46:47], v[230:231], v[148:151]// 000000003E3C: D3F30094 0E53CD2E
	s_waitcnt vmcnt(24)                                        // 000000003E44: BF8C4F78
	v_mfma_f32_16x16x32_fp8_fp8 v[152:155], a[48:49], v[200:201], v[152:155]// 000000003E48: D3F30098 0E639130
	v_mfma_f32_16x16x32_fp8_fp8 v[152:155], a[50:51], v[202:203], v[152:155]// 000000003E50: D3F30098 0E639532
	buffer_load_dwordx4 a[128:131], v37, s[92:95], 0 offen     // 000000003E58: E05C1000 80978025
	v_mfma_f32_16x16x32_fp8_fp8 v[152:155], a[52:53], v[204:205], v[152:155]// 000000003E60: D3F30098 0E639934
	v_mfma_f32_16x16x32_fp8_fp8 v[152:155], a[54:55], v[206:207], v[152:155]// 000000003E68: D3F30098 0E639D36
	v_mfma_f32_16x16x32_fp8_fp8 v[152:155], a[56:57], v[208:209], v[152:155]// 000000003E70: D3F30098 0E63A138
	v_mfma_f32_16x16x32_fp8_fp8 v[152:155], a[58:59], v[210:211], v[152:155]// 000000003E78: D3F30098 0E63A53A
	buffer_load_dwordx4 a[132:135], v37, s[92:95], 0 offen offset:1024// 000000003E80: E05C1400 80978425
	v_mfma_f32_16x16x32_fp8_fp8 v[152:155], a[60:61], v[212:213], v[152:155]// 000000003E88: D3F30098 0E63A93C
	v_mfma_f32_16x16x32_fp8_fp8 v[152:155], a[62:63], v[214:215], v[152:155]// 000000003E90: D3F30098 0E63AD3E
	v_mfma_f32_16x16x32_fp8_fp8 v[156:159], a[48:49], v[216:217], v[156:159]// 000000003E98: D3F3009C 0E73B130
	v_mfma_f32_16x16x32_fp8_fp8 v[156:159], a[50:51], v[218:219], v[156:159]// 000000003EA0: D3F3009C 0E73B532
	buffer_load_dwordx4 a[136:139], v37, s[92:95], 0 offen offset:2048// 000000003EA8: E05C1800 80978825
	v_mfma_f32_16x16x32_fp8_fp8 v[156:159], a[52:53], v[220:221], v[156:159]// 000000003EB0: D3F3009C 0E73B934
	v_mfma_f32_16x16x32_fp8_fp8 v[156:159], a[54:55], v[222:223], v[156:159]// 000000003EB8: D3F3009C 0E73BD36
	v_mfma_f32_16x16x32_fp8_fp8 v[156:159], a[56:57], v[224:225], v[156:159]// 000000003EC0: D3F3009C 0E73C138
	v_mfma_f32_16x16x32_fp8_fp8 v[156:159], a[58:59], v[226:227], v[156:159]// 000000003EC8: D3F3009C 0E73C53A
	buffer_load_dwordx4 a[140:143], v37, s[92:95], 0 offen offset:3072// 000000003ED0: E05C1C00 80978C25
	v_mfma_f32_16x16x32_fp8_fp8 v[156:159], a[60:61], v[228:229], v[156:159]// 000000003ED8: D3F3009C 0E73C93C
	v_mfma_f32_16x16x32_fp8_fp8 v[156:159], a[62:63], v[230:231], v[156:159]// 000000003EE0: D3F3009C 0E73CD3E
	s_waitcnt vmcnt(24)                                        // 000000003EE8: BF8C4F78
	v_mfma_f32_16x16x32_fp8_fp8 v[160:163], a[64:65], v[200:201], v[160:163]// 000000003EEC: D3F300A0 0E839140
	v_mfma_f32_16x16x32_fp8_fp8 v[160:163], a[66:67], v[202:203], v[160:163]// 000000003EF4: D3F300A0 0E839542
	buffer_load_dwordx4 a[144:147], v38, s[92:95], 0 offen     // 000000003EFC: E05C1000 80979026
	v_mfma_f32_16x16x32_fp8_fp8 v[160:163], a[68:69], v[204:205], v[160:163]// 000000003F04: D3F300A0 0E839944
	v_mfma_f32_16x16x32_fp8_fp8 v[160:163], a[70:71], v[206:207], v[160:163]// 000000003F0C: D3F300A0 0E839D46
	v_mfma_f32_16x16x32_fp8_fp8 v[160:163], a[72:73], v[208:209], v[160:163]// 000000003F14: D3F300A0 0E83A148
	v_mfma_f32_16x16x32_fp8_fp8 v[160:163], a[74:75], v[210:211], v[160:163]// 000000003F1C: D3F300A0 0E83A54A
	buffer_load_dwordx4 a[148:151], v38, s[92:95], 0 offen offset:1024// 000000003F24: E05C1400 80979426
	v_mfma_f32_16x16x32_fp8_fp8 v[160:163], a[76:77], v[212:213], v[160:163]// 000000003F2C: D3F300A0 0E83A94C
	v_mfma_f32_16x16x32_fp8_fp8 v[160:163], a[78:79], v[214:215], v[160:163]// 000000003F34: D3F300A0 0E83AD4E
	v_mfma_f32_16x16x32_fp8_fp8 v[164:167], a[64:65], v[216:217], v[164:167]// 000000003F3C: D3F300A4 0E93B140
	v_mfma_f32_16x16x32_fp8_fp8 v[164:167], a[66:67], v[218:219], v[164:167]// 000000003F44: D3F300A4 0E93B542
	buffer_load_dwordx4 a[152:155], v38, s[92:95], 0 offen offset:2048// 000000003F4C: E05C1800 80979826
	v_mfma_f32_16x16x32_fp8_fp8 v[164:167], a[68:69], v[220:221], v[164:167]// 000000003F54: D3F300A4 0E93B944
	v_mfma_f32_16x16x32_fp8_fp8 v[164:167], a[70:71], v[222:223], v[164:167]// 000000003F5C: D3F300A4 0E93BD46
	v_mfma_f32_16x16x32_fp8_fp8 v[164:167], a[72:73], v[224:225], v[164:167]// 000000003F64: D3F300A4 0E93C148
	v_mfma_f32_16x16x32_fp8_fp8 v[164:167], a[74:75], v[226:227], v[164:167]// 000000003F6C: D3F300A4 0E93C54A
	buffer_load_dwordx4 a[156:159], v38, s[92:95], 0 offen offset:3072// 000000003F74: E05C1C00 80979C26
	v_mfma_f32_16x16x32_fp8_fp8 v[164:167], a[76:77], v[228:229], v[164:167]// 000000003F7C: D3F300A4 0E93C94C
	v_mfma_f32_16x16x32_fp8_fp8 v[164:167], a[78:79], v[230:231], v[164:167]// 000000003F84: D3F300A4 0E93CD4E
	s_waitcnt vmcnt(12)                                        // 000000003F8C: BF8C0F7C
	s_barrier                                                  // 000000003F90: BF8A0000
	v_mfma_f32_16x16x32_fp8_fp8 v[64:67], a[80:81], v[200:201], v[64:67]// 000000003F94: D3F30040 0D039150
	v_mfma_f32_16x16x32_fp8_fp8 v[64:67], a[82:83], v[202:203], v[64:67]// 000000003F9C: D3F30040 0D039552
	buffer_load_dwordx4 a[0:3], v34, s[24:27], 0 offen         // 000000003FA4: E05C1000 80860022
	v_mfma_f32_16x16x32_fp8_fp8 v[64:67], a[84:85], v[204:205], v[64:67]// 000000003FAC: D3F30040 0D039954
	v_mfma_f32_16x16x32_fp8_fp8 v[64:67], a[86:87], v[206:207], v[64:67]// 000000003FB4: D3F30040 0D039D56
	v_mfma_f32_16x16x32_fp8_fp8 v[64:67], a[88:89], v[208:209], v[64:67]// 000000003FBC: D3F30040 0D03A158
	v_mfma_f32_16x16x32_fp8_fp8 v[64:67], a[90:91], v[210:211], v[64:67]// 000000003FC4: D3F30040 0D03A55A
	buffer_load_dwordx4 a[4:7], v34, s[24:27], 0 offen offset:1024// 000000003FCC: E05C1400 80860422
	v_mfma_f32_16x16x32_fp8_fp8 v[64:67], a[92:93], v[212:213], v[64:67]// 000000003FD4: D3F30040 0D03A95C
	v_mfma_f32_16x16x32_fp8_fp8 v[64:67], a[94:95], v[214:215], v[64:67]// 000000003FDC: D3F30040 0D03AD5E
	v_mfma_f32_16x16x32_fp8_fp8 v[68:71], a[80:81], v[216:217], v[68:71]// 000000003FE4: D3F30044 0D13B150
	v_mfma_f32_16x16x32_fp8_fp8 v[68:71], a[82:83], v[218:219], v[68:71]// 000000003FEC: D3F30044 0D13B552
	buffer_load_dwordx4 a[8:11], v34, s[24:27], 0 offen offset:2048// 000000003FF4: E05C1800 80860822
	v_mfma_f32_16x16x32_fp8_fp8 v[68:71], a[84:85], v[220:221], v[68:71]// 000000003FFC: D3F30044 0D13B954
	v_mfma_f32_16x16x32_fp8_fp8 v[68:71], a[86:87], v[222:223], v[68:71]// 000000004004: D3F30044 0D13BD56
	v_mfma_f32_16x16x32_fp8_fp8 v[68:71], a[88:89], v[224:225], v[68:71]// 00000000400C: D3F30044 0D13C158
	v_mfma_f32_16x16x32_fp8_fp8 v[68:71], a[90:91], v[226:227], v[68:71]// 000000004014: D3F30044 0D13C55A
	buffer_load_dwordx4 a[12:15], v34, s[24:27], 0 offen offset:3072// 00000000401C: E05C1C00 80860C22
	v_mfma_f32_16x16x32_fp8_fp8 v[68:71], a[92:93], v[228:229], v[68:71]// 000000004024: D3F30044 0D13C95C
	v_mfma_f32_16x16x32_fp8_fp8 v[68:71], a[94:95], v[230:231], v[68:71]// 00000000402C: D3F30044 0D13CD5E
	v_mfma_f32_16x16x32_fp8_fp8 v[72:75], a[96:97], v[200:201], v[72:75]// 000000004034: D3F30048 0D239160
	v_mfma_f32_16x16x32_fp8_fp8 v[72:75], a[98:99], v[202:203], v[72:75]// 00000000403C: D3F30048 0D239562
	buffer_load_dwordx4 a[16:19], v35, s[24:27], 0 offen       // 000000004044: E05C1000 80861023
	v_mfma_f32_16x16x32_fp8_fp8 v[72:75], a[100:101], v[204:205], v[72:75]// 00000000404C: D3F30048 0D239964
	v_mfma_f32_16x16x32_fp8_fp8 v[72:75], a[102:103], v[206:207], v[72:75]// 000000004054: D3F30048 0D239D66
	v_mfma_f32_16x16x32_fp8_fp8 v[72:75], a[104:105], v[208:209], v[72:75]// 00000000405C: D3F30048 0D23A168
	v_mfma_f32_16x16x32_fp8_fp8 v[72:75], a[106:107], v[210:211], v[72:75]// 000000004064: D3F30048 0D23A56A
	buffer_load_dwordx4 a[20:23], v35, s[24:27], 0 offen offset:1024// 00000000406C: E05C1400 80861423
	v_mfma_f32_16x16x32_fp8_fp8 v[72:75], a[108:109], v[212:213], v[72:75]// 000000004074: D3F30048 0D23A96C
	v_mfma_f32_16x16x32_fp8_fp8 v[72:75], a[110:111], v[214:215], v[72:75]// 00000000407C: D3F30048 0D23AD6E
	v_mfma_f32_16x16x32_fp8_fp8 v[76:79], a[96:97], v[216:217], v[76:79]// 000000004084: D3F3004C 0D33B160
	v_mfma_f32_16x16x32_fp8_fp8 v[76:79], a[98:99], v[218:219], v[76:79]// 00000000408C: D3F3004C 0D33B562
	buffer_load_dwordx4 a[24:27], v35, s[24:27], 0 offen offset:2048// 000000004094: E05C1800 80861823
	v_mfma_f32_16x16x32_fp8_fp8 v[76:79], a[100:101], v[220:221], v[76:79]// 00000000409C: D3F3004C 0D33B964
	v_mfma_f32_16x16x32_fp8_fp8 v[76:79], a[102:103], v[222:223], v[76:79]// 0000000040A4: D3F3004C 0D33BD66
	v_mfma_f32_16x16x32_fp8_fp8 v[76:79], a[104:105], v[224:225], v[76:79]// 0000000040AC: D3F3004C 0D33C168
	v_mfma_f32_16x16x32_fp8_fp8 v[76:79], a[106:107], v[226:227], v[76:79]// 0000000040B4: D3F3004C 0D33C56A
	buffer_load_dwordx4 a[28:31], v35, s[24:27], 0 offen offset:3072// 0000000040BC: E05C1C00 80861C23
	v_mfma_f32_16x16x32_fp8_fp8 v[76:79], a[108:109], v[228:229], v[76:79]// 0000000040C4: D3F3004C 0D33C96C
	v_mfma_f32_16x16x32_fp8_fp8 v[76:79], a[110:111], v[230:231], v[76:79]// 0000000040CC: D3F3004C 0D33CD6E
	s_waitcnt vmcnt(16)                                        // 0000000040D4: BF8C4F70
	v_mfma_f32_16x16x32_fp8_fp8 v[80:83], a[112:113], v[200:201], v[80:83]// 0000000040D8: D3F30050 0D439170
	v_mfma_f32_16x16x32_fp8_fp8 v[80:83], a[114:115], v[202:203], v[80:83]// 0000000040E0: D3F30050 0D439572
	buffer_load_dwordx4 a[32:35], v36, s[24:27], 0 offen       // 0000000040E8: E05C1000 80862024
	v_mfma_f32_16x16x32_fp8_fp8 v[80:83], a[116:117], v[204:205], v[80:83]// 0000000040F0: D3F30050 0D439974
	v_mfma_f32_16x16x32_fp8_fp8 v[80:83], a[118:119], v[206:207], v[80:83]// 0000000040F8: D3F30050 0D439D76
	ds_read_b128 v[168:171], v2                                // 000000004100: D9FE0000 A8000002
	v_mfma_f32_16x16x32_fp8_fp8 v[80:83], a[120:121], v[208:209], v[80:83]// 000000004108: D3F30050 0D43A178
	v_mfma_f32_16x16x32_fp8_fp8 v[80:83], a[122:123], v[210:211], v[80:83]// 000000004110: D3F30050 0D43A57A
	buffer_load_dwordx4 a[36:39], v36, s[24:27], 0 offen offset:1024// 000000004118: E05C1400 80862424
	v_mfma_f32_16x16x32_fp8_fp8 v[80:83], a[124:125], v[212:213], v[80:83]// 000000004120: D3F30050 0D43A97C
	v_mfma_f32_16x16x32_fp8_fp8 v[80:83], a[126:127], v[214:215], v[80:83]// 000000004128: D3F30050 0D43AD7E
	ds_read_b128 v[172:175], v2 offset:64                      // 000000004130: D9FE0040 AC000002
	v_mfma_f32_16x16x32_fp8_fp8 v[84:87], a[112:113], v[216:217], v[84:87]// 000000004138: D3F30054 0D53B170
	v_mfma_f32_16x16x32_fp8_fp8 v[84:87], a[114:115], v[218:219], v[84:87]// 000000004140: D3F30054 0D53B572
	buffer_load_dwordx4 a[40:43], v36, s[24:27], 0 offen offset:2048// 000000004148: E05C1800 80862824
	v_mfma_f32_16x16x32_fp8_fp8 v[84:87], a[116:117], v[220:221], v[84:87]// 000000004150: D3F30054 0D53B974
	v_mfma_f32_16x16x32_fp8_fp8 v[84:87], a[118:119], v[222:223], v[84:87]// 000000004158: D3F30054 0D53BD76
	ds_read_b128 v[176:179], v2 offset:128                     // 000000004160: D9FE0080 B0000002
	v_mfma_f32_16x16x32_fp8_fp8 v[84:87], a[120:121], v[224:225], v[84:87]// 000000004168: D3F30054 0D53C178
	v_mfma_f32_16x16x32_fp8_fp8 v[84:87], a[122:123], v[226:227], v[84:87]// 000000004170: D3F30054 0D53C57A
	buffer_load_dwordx4 a[44:47], v36, s[24:27], 0 offen offset:3072// 000000004178: E05C1C00 80862C24
	v_mfma_f32_16x16x32_fp8_fp8 v[84:87], a[124:125], v[228:229], v[84:87]// 000000004180: D3F30054 0D53C97C
	v_mfma_f32_16x16x32_fp8_fp8 v[84:87], a[126:127], v[230:231], v[84:87]// 000000004188: D3F30054 0D53CD7E
	ds_read_b128 v[180:183], v2 offset:192                     // 000000004190: D9FE00C0 B4000002
	s_waitcnt vmcnt(16)                                        // 000000004198: BF8C4F70
	v_mfma_f32_16x16x32_fp8_fp8 v[88:91], a[128:129], v[200:201], v[88:91]// 00000000419C: D3F30058 0D639180
	v_mfma_f32_16x16x32_fp8_fp8 v[88:91], a[130:131], v[202:203], v[88:91]// 0000000041A4: D3F30058 0D639582
	buffer_load_dwordx4 a[48:51], v37, s[24:27], 0 offen       // 0000000041AC: E05C1000 80863025
	v_mfma_f32_16x16x32_fp8_fp8 v[88:91], a[132:133], v[204:205], v[88:91]// 0000000041B4: D3F30058 0D639984
	v_mfma_f32_16x16x32_fp8_fp8 v[88:91], a[134:135], v[206:207], v[88:91]// 0000000041BC: D3F30058 0D639D86
	ds_read_b128 v[184:187], v2 offset:1024                    // 0000000041C4: D9FE0400 B8000002
	v_mfma_f32_16x16x32_fp8_fp8 v[88:91], a[136:137], v[208:209], v[88:91]// 0000000041CC: D3F30058 0D63A188
	v_mfma_f32_16x16x32_fp8_fp8 v[88:91], a[138:139], v[210:211], v[88:91]// 0000000041D4: D3F30058 0D63A58A
	buffer_load_dwordx4 a[52:55], v37, s[24:27], 0 offen offset:1024// 0000000041DC: E05C1400 80863425
	v_mfma_f32_16x16x32_fp8_fp8 v[88:91], a[140:141], v[212:213], v[88:91]// 0000000041E4: D3F30058 0D63A98C
	v_mfma_f32_16x16x32_fp8_fp8 v[88:91], a[142:143], v[214:215], v[88:91]// 0000000041EC: D3F30058 0D63AD8E
	ds_read_b128 v[188:191], v2 offset:1088                    // 0000000041F4: D9FE0440 BC000002
	v_mfma_f32_16x16x32_fp8_fp8 v[92:95], a[128:129], v[216:217], v[92:95]// 0000000041FC: D3F3005C 0D73B180
	v_mfma_f32_16x16x32_fp8_fp8 v[92:95], a[130:131], v[218:219], v[92:95]// 000000004204: D3F3005C 0D73B582
	buffer_load_dwordx4 a[56:59], v37, s[24:27], 0 offen offset:2048// 00000000420C: E05C1800 80863825
	v_mfma_f32_16x16x32_fp8_fp8 v[92:95], a[132:133], v[220:221], v[92:95]// 000000004214: D3F3005C 0D73B984
	v_mfma_f32_16x16x32_fp8_fp8 v[92:95], a[134:135], v[222:223], v[92:95]// 00000000421C: D3F3005C 0D73BD86
	ds_read_b128 v[192:195], v2 offset:1152                    // 000000004224: D9FE0480 C0000002
	v_mfma_f32_16x16x32_fp8_fp8 v[92:95], a[136:137], v[224:225], v[92:95]// 00000000422C: D3F3005C 0D73C188
	v_mfma_f32_16x16x32_fp8_fp8 v[92:95], a[138:139], v[226:227], v[92:95]// 000000004234: D3F3005C 0D73C58A
	buffer_load_dwordx4 a[60:63], v37, s[24:27], 0 offen offset:3072// 00000000423C: E05C1C00 80863C25
	v_mfma_f32_16x16x32_fp8_fp8 v[92:95], a[140:141], v[228:229], v[92:95]// 000000004244: D3F3005C 0D73C98C
	v_mfma_f32_16x16x32_fp8_fp8 v[92:95], a[142:143], v[230:231], v[92:95]// 00000000424C: D3F3005C 0D73CD8E
	ds_read_b128 v[196:199], v2 offset:1216                    // 000000004254: D9FE04C0 C4000002
	s_waitcnt vmcnt(16)                                        // 00000000425C: BF8C4F70
	v_mfma_f32_16x16x32_fp8_fp8 v[96:99], a[144:145], v[200:201], v[96:99]// 000000004260: D3F30060 0D839190
	v_mfma_f32_16x16x32_fp8_fp8 v[96:99], a[146:147], v[202:203], v[96:99]// 000000004268: D3F30060 0D839592
	buffer_load_dwordx4 a[64:67], v38, s[24:27], 0 offen       // 000000004270: E05C1000 80864026
	v_mfma_f32_16x16x32_fp8_fp8 v[96:99], a[148:149], v[204:205], v[96:99]// 000000004278: D3F30060 0D839994
	v_mfma_f32_16x16x32_fp8_fp8 v[96:99], a[150:151], v[206:207], v[96:99]// 000000004280: D3F30060 0D839D96
	v_mfma_f32_16x16x32_fp8_fp8 v[96:99], a[152:153], v[208:209], v[96:99]// 000000004288: D3F30060 0D83A198
	v_mfma_f32_16x16x32_fp8_fp8 v[96:99], a[154:155], v[210:211], v[96:99]// 000000004290: D3F30060 0D83A59A
	buffer_load_dwordx4 a[68:71], v38, s[24:27], 0 offen offset:1024// 000000004298: E05C1400 80864426
	v_mfma_f32_16x16x32_fp8_fp8 v[96:99], a[156:157], v[212:213], v[96:99]// 0000000042A0: D3F30060 0D83A99C
	v_mfma_f32_16x16x32_fp8_fp8 v[96:99], a[158:159], v[214:215], v[96:99]// 0000000042A8: D3F30060 0D83AD9E
	v_mfma_f32_16x16x32_fp8_fp8 v[100:103], a[144:145], v[216:217], v[100:103]// 0000000042B0: D3F30064 0D93B190
	v_mfma_f32_16x16x32_fp8_fp8 v[100:103], a[146:147], v[218:219], v[100:103]// 0000000042B8: D3F30064 0D93B592
	buffer_load_dwordx4 a[72:75], v38, s[24:27], 0 offen offset:2048// 0000000042C0: E05C1800 80864826
	v_mfma_f32_16x16x32_fp8_fp8 v[100:103], a[148:149], v[220:221], v[100:103]// 0000000042C8: D3F30064 0D93B994
	v_mfma_f32_16x16x32_fp8_fp8 v[100:103], a[150:151], v[222:223], v[100:103]// 0000000042D0: D3F30064 0D93BD96
	v_mfma_f32_16x16x32_fp8_fp8 v[100:103], a[152:153], v[224:225], v[100:103]// 0000000042D8: D3F30064 0D93C198
	v_mfma_f32_16x16x32_fp8_fp8 v[100:103], a[154:155], v[226:227], v[100:103]// 0000000042E0: D3F30064 0D93C59A
	buffer_load_dwordx4 a[76:79], v38, s[24:27], 0 offen offset:3072// 0000000042E8: E05C1C00 80864C26
	v_mfma_f32_16x16x32_fp8_fp8 v[100:103], a[156:157], v[228:229], v[100:103]// 0000000042F0: D3F30064 0D93C99C
	v_mfma_f32_16x16x32_fp8_fp8 v[100:103], a[158:159], v[230:231], v[100:103]// 0000000042F8: D3F30064 0D93CD9E
	s_add_u32 s60, 0x200, s80                                  // 000000004300: 803C50FF 00000200
	s_cmp_lt_u32 s60, s81                                      // 000000004308: BF0A513C
	s_cselect_b32 s57, s57, 0                                  // 00000000430C: 85398039
	s_add_u32 s60, 0x200, s80                                  // 000000004310: 803C50FF 00000200
	s_cmp_lt_u32 s60, s81                                      // 000000004318: BF0A513C
	s_cselect_b32 s58, s58, 0                                  // 00000000431C: 853A803A
	s_add_u32 s20, s57, s20                                    // 000000004320: 80141439
	s_addc_u32 s21, 0, s21                                     // 000000004324: 82151580
	s_add_u32 s24, s58, s24                                    // 000000004328: 8018183A
	s_addc_u32 s25, 0, s25                                     // 00000000432C: 82191980
	s_add_u32 s92, s90, s92                                    // 000000004330: 805C5C5A
	s_addc_u32 s93, 0, s93                                     // 000000004334: 825D5D80
	s_addk_i32 s80, 0x100                                      // 000000004338: B7500100
	s_cmp_lt_i32 s80, s81                                      // 00000000433C: BF045150
	s_cbranch_scc0 label_0612                                  // 000000004340: BF840001
	s_branch label_025D                                        // 000000004344: BF82FC4B

0000000000004348 <label_0612>:
	s_mov_b32 s36, -1                                          // 000000004348: BEA400C1
	s_mov_b32 s37, -1                                          // 00000000434C: BEA500C1
	s_mov_b64 s[60:61], 0                                      // 000000004350: BEBC0180
	s_cmp_lt_u32 s82, s66                                      // 000000004354: BF0A4252
	s_cselect_b64 s[20:21], s[36:37], s[60:61]                 // 000000004358: 85943C24
	s_cmp_lt_u32 s83, s66                                      // 00000000435C: BF0A4253
	s_cselect_b64 s[22:23], s[36:37], s[60:61]                 // 000000004360: 85963C24
	s_cmp_lt_u32 s84, s66                                      // 000000004364: BF0A4254
	s_cselect_b64 s[24:25], s[36:37], s[60:61]                 // 000000004368: 85983C24
	s_cmp_lt_u32 s85, s66                                      // 00000000436C: BF0A4255
	s_cselect_b64 s[26:27], s[36:37], s[60:61]                 // 000000004370: 859A3C24
	s_cmp_lt_u32 s86, s66                                      // 000000004374: BF0A4256
	s_cselect_b64 s[28:29], s[36:37], s[60:61]                 // 000000004378: 859C3C24
	s_cmp_lt_u32 s87, s66                                      // 00000000437C: BF0A4257
	s_cselect_b64 s[30:31], s[36:37], s[60:61]                 // 000000004380: 859E3C24
	s_cmp_lt_u32 s88, s66                                      // 000000004384: BF0A4258
	s_cselect_b64 s[32:33], s[36:37], s[60:61]                 // 000000004388: 85A03C24
	s_cmp_lt_u32 s89, s66                                      // 00000000438C: BF0A4259
	s_cselect_b64 s[34:35], s[36:37], s[60:61]                 // 000000004390: 85A23C24
	v_mul_f32_e32 v128, v14, v128                              // 000000004394: 0B01010E
	v_mul_f32_e32 v128, v20, v128                              // 000000004398: 0B010114
	v_mul_f32_e32 v129, v14, v129                              // 00000000439C: 0B03030E
	v_mul_f32_e32 v129, v20, v129                              // 0000000043A0: 0B030314
	v_mul_f32_e32 v130, v14, v130                              // 0000000043A4: 0B05050E
	v_mul_f32_e32 v130, v20, v130                              // 0000000043A8: 0B050514
	v_mul_f32_e32 v131, v14, v131                              // 0000000043AC: 0B07070E
	v_mul_f32_e32 v131, v20, v131                              // 0000000043B0: 0B070714
	v_mul_f32_dpp v128, v16, v128 row_newbcast:0 row_mask:0xf bank_mask:0xf// 0000000043B4: 0B0100FA FF015010
	v_mul_f32_dpp v129, v16, v129 row_newbcast:1 row_mask:0xf bank_mask:0xf// 0000000043BC: 0B0302FA FF015110
	v_mul_f32_dpp v130, v16, v130 row_newbcast:2 row_mask:0xf bank_mask:0xf// 0000000043C4: 0B0504FA FF015210
	v_mul_f32_dpp v131, v16, v131 row_newbcast:3 row_mask:0xf bank_mask:0xf// 0000000043CC: 0B0706FA FF015310
	v_mul_f32_e32 v132, v15, v132                              // 0000000043D4: 0B09090F
	v_mul_f32_e32 v132, v21, v132                              // 0000000043D8: 0B090915
	v_mul_f32_e32 v133, v15, v133                              // 0000000043DC: 0B0B0B0F
	v_mul_f32_e32 v133, v21, v133                              // 0000000043E0: 0B0B0B15
	v_mul_f32_e32 v134, v15, v134                              // 0000000043E4: 0B0D0D0F
	v_mul_f32_e32 v134, v21, v134                              // 0000000043E8: 0B0D0D15
	v_mul_f32_e32 v135, v15, v135                              // 0000000043EC: 0B0F0F0F
	v_mul_f32_e32 v135, v21, v135                              // 0000000043F0: 0B0F0F15
	v_mul_f32_dpp v132, v16, v132 row_newbcast:0 row_mask:0xf bank_mask:0xf// 0000000043F4: 0B0908FA FF015010
	v_mul_f32_dpp v133, v16, v133 row_newbcast:1 row_mask:0xf bank_mask:0xf// 0000000043FC: 0B0B0AFA FF015110
	v_mul_f32_dpp v134, v16, v134 row_newbcast:2 row_mask:0xf bank_mask:0xf// 000000004404: 0B0D0CFA FF015210
	v_mul_f32_dpp v135, v16, v135 row_newbcast:3 row_mask:0xf bank_mask:0xf// 00000000440C: 0B0F0EFA FF015310
	v_mul_f32_e32 v136, v14, v136                              // 000000004414: 0B11110E
	v_mul_f32_e32 v136, v20, v136                              // 000000004418: 0B111114
	v_mul_f32_e32 v137, v14, v137                              // 00000000441C: 0B13130E
	v_mul_f32_e32 v137, v20, v137                              // 000000004420: 0B131314
	v_mul_f32_e32 v138, v14, v138                              // 000000004424: 0B15150E
	v_mul_f32_e32 v138, v20, v138                              // 000000004428: 0B151514
	v_mul_f32_e32 v139, v14, v139                              // 00000000442C: 0B17170E
	v_mul_f32_e32 v139, v20, v139                              // 000000004430: 0B171714
	v_mul_f32_dpp v136, v16, v136 row_newbcast:4 row_mask:0xf bank_mask:0xf// 000000004434: 0B1110FA FF015410
	v_mul_f32_dpp v137, v16, v137 row_newbcast:5 row_mask:0xf bank_mask:0xf// 00000000443C: 0B1312FA FF015510
	v_mul_f32_dpp v138, v16, v138 row_newbcast:6 row_mask:0xf bank_mask:0xf// 000000004444: 0B1514FA FF015610
	v_mul_f32_dpp v139, v16, v139 row_newbcast:7 row_mask:0xf bank_mask:0xf// 00000000444C: 0B1716FA FF015710
	v_mul_f32_e32 v140, v15, v140                              // 000000004454: 0B19190F
	v_mul_f32_e32 v140, v21, v140                              // 000000004458: 0B191915
	v_mul_f32_e32 v141, v15, v141                              // 00000000445C: 0B1B1B0F
	v_mul_f32_e32 v141, v21, v141                              // 000000004460: 0B1B1B15
	v_mul_f32_e32 v142, v15, v142                              // 000000004464: 0B1D1D0F
	v_mul_f32_e32 v142, v21, v142                              // 000000004468: 0B1D1D15
	v_mul_f32_e32 v143, v15, v143                              // 00000000446C: 0B1F1F0F
	v_mul_f32_e32 v143, v21, v143                              // 000000004470: 0B1F1F15
	v_mul_f32_dpp v140, v16, v140 row_newbcast:4 row_mask:0xf bank_mask:0xf// 000000004474: 0B1918FA FF015410
	v_mul_f32_dpp v141, v16, v141 row_newbcast:5 row_mask:0xf bank_mask:0xf// 00000000447C: 0B1B1AFA FF015510
	v_mul_f32_dpp v142, v16, v142 row_newbcast:6 row_mask:0xf bank_mask:0xf// 000000004484: 0B1D1CFA FF015610
	v_mul_f32_dpp v143, v16, v143 row_newbcast:7 row_mask:0xf bank_mask:0xf// 00000000448C: 0B1F1EFA FF015710
	v_mul_f32_e32 v144, v14, v144                              // 000000004494: 0B21210E
	v_mul_f32_e32 v144, v20, v144                              // 000000004498: 0B212114
	v_mul_f32_e32 v145, v14, v145                              // 00000000449C: 0B23230E
	v_mul_f32_e32 v145, v20, v145                              // 0000000044A0: 0B232314
	v_mul_f32_e32 v146, v14, v146                              // 0000000044A4: 0B25250E
	v_mul_f32_e32 v146, v20, v146                              // 0000000044A8: 0B252514
	v_mul_f32_e32 v147, v14, v147                              // 0000000044AC: 0B27270E
	v_mul_f32_e32 v147, v20, v147                              // 0000000044B0: 0B272714
	v_mul_f32_dpp v144, v16, v144 row_newbcast:8 row_mask:0xf bank_mask:0xf// 0000000044B4: 0B2120FA FF015810
	v_mul_f32_dpp v145, v16, v145 row_newbcast:9 row_mask:0xf bank_mask:0xf// 0000000044BC: 0B2322FA FF015910
	v_mul_f32_dpp v146, v16, v146 row_newbcast:10 row_mask:0xf bank_mask:0xf// 0000000044C4: 0B2524FA FF015A10
	v_mul_f32_dpp v147, v16, v147 row_newbcast:11 row_mask:0xf bank_mask:0xf// 0000000044CC: 0B2726FA FF015B10
	v_mul_f32_e32 v148, v15, v148                              // 0000000044D4: 0B29290F
	v_mul_f32_e32 v148, v21, v148                              // 0000000044D8: 0B292915
	v_mul_f32_e32 v149, v15, v149                              // 0000000044DC: 0B2B2B0F
	v_mul_f32_e32 v149, v21, v149                              // 0000000044E0: 0B2B2B15
	v_mul_f32_e32 v150, v15, v150                              // 0000000044E4: 0B2D2D0F
	v_mul_f32_e32 v150, v21, v150                              // 0000000044E8: 0B2D2D15
	v_mul_f32_e32 v151, v15, v151                              // 0000000044EC: 0B2F2F0F
	v_mul_f32_e32 v151, v21, v151                              // 0000000044F0: 0B2F2F15
	v_mul_f32_dpp v148, v16, v148 row_newbcast:8 row_mask:0xf bank_mask:0xf// 0000000044F4: 0B2928FA FF015810
	v_mul_f32_dpp v149, v16, v149 row_newbcast:9 row_mask:0xf bank_mask:0xf// 0000000044FC: 0B2B2AFA FF015910
	v_mul_f32_dpp v150, v16, v150 row_newbcast:10 row_mask:0xf bank_mask:0xf// 000000004504: 0B2D2CFA FF015A10
	v_mul_f32_dpp v151, v16, v151 row_newbcast:11 row_mask:0xf bank_mask:0xf// 00000000450C: 0B2F2EFA FF015B10
	v_mul_f32_e32 v152, v14, v152                              // 000000004514: 0B31310E
	v_mul_f32_e32 v152, v20, v152                              // 000000004518: 0B313114
	v_mul_f32_e32 v153, v14, v153                              // 00000000451C: 0B33330E
	v_mul_f32_e32 v153, v20, v153                              // 000000004520: 0B333314
	v_mul_f32_e32 v154, v14, v154                              // 000000004524: 0B35350E
	v_mul_f32_e32 v154, v20, v154                              // 000000004528: 0B353514
	v_mul_f32_e32 v155, v14, v155                              // 00000000452C: 0B37370E
	v_mul_f32_e32 v155, v20, v155                              // 000000004530: 0B373714
	v_mul_f32_dpp v152, v16, v152 row_newbcast:12 row_mask:0xf bank_mask:0xf// 000000004534: 0B3130FA FF015C10
	v_mul_f32_dpp v153, v16, v153 row_newbcast:13 row_mask:0xf bank_mask:0xf// 00000000453C: 0B3332FA FF015D10
	v_mul_f32_dpp v154, v16, v154 row_newbcast:14 row_mask:0xf bank_mask:0xf// 000000004544: 0B3534FA FF015E10
	v_mul_f32_dpp v155, v16, v155 row_newbcast:15 row_mask:0xf bank_mask:0xf// 00000000454C: 0B3736FA FF015F10
	v_mul_f32_e32 v156, v15, v156                              // 000000004554: 0B39390F
	v_mul_f32_e32 v156, v21, v156                              // 000000004558: 0B393915
	v_mul_f32_e32 v157, v15, v157                              // 00000000455C: 0B3B3B0F
	v_mul_f32_e32 v157, v21, v157                              // 000000004560: 0B3B3B15
	v_mul_f32_e32 v158, v15, v158                              // 000000004564: 0B3D3D0F
	v_mul_f32_e32 v158, v21, v158                              // 000000004568: 0B3D3D15
	v_mul_f32_e32 v159, v15, v159                              // 00000000456C: 0B3F3F0F
	v_mul_f32_e32 v159, v21, v159                              // 000000004570: 0B3F3F15
	v_mul_f32_dpp v156, v16, v156 row_newbcast:12 row_mask:0xf bank_mask:0xf// 000000004574: 0B3938FA FF015C10
	v_mul_f32_dpp v157, v16, v157 row_newbcast:13 row_mask:0xf bank_mask:0xf// 00000000457C: 0B3B3AFA FF015D10
	v_mul_f32_dpp v158, v16, v158 row_newbcast:14 row_mask:0xf bank_mask:0xf// 000000004584: 0B3D3CFA FF015E10
	v_mul_f32_dpp v159, v16, v159 row_newbcast:15 row_mask:0xf bank_mask:0xf// 00000000458C: 0B3F3EFA FF015F10
	v_mul_f32_e32 v160, v14, v160                              // 000000004594: 0B41410E
	v_mul_f32_e32 v160, v20, v160                              // 000000004598: 0B414114
	v_mul_f32_e32 v161, v14, v161                              // 00000000459C: 0B43430E
	v_mul_f32_e32 v161, v20, v161                              // 0000000045A0: 0B434314
	v_mul_f32_e32 v162, v14, v162                              // 0000000045A4: 0B45450E
	v_mul_f32_e32 v162, v20, v162                              // 0000000045A8: 0B454514
	v_mul_f32_e32 v163, v14, v163                              // 0000000045AC: 0B47470E
	v_mul_f32_e32 v163, v20, v163                              // 0000000045B0: 0B474714
	v_mul_f32_dpp v160, v17, v160 row_newbcast:0 row_mask:0xf bank_mask:0xf// 0000000045B4: 0B4140FA FF015011
	v_mul_f32_dpp v161, v17, v161 row_newbcast:1 row_mask:0xf bank_mask:0xf// 0000000045BC: 0B4342FA FF015111
	v_mul_f32_dpp v162, v17, v162 row_newbcast:2 row_mask:0xf bank_mask:0xf// 0000000045C4: 0B4544FA FF015211
	v_mul_f32_dpp v163, v17, v163 row_newbcast:3 row_mask:0xf bank_mask:0xf// 0000000045CC: 0B4746FA FF015311
	v_mul_f32_e32 v164, v15, v164                              // 0000000045D4: 0B49490F
	v_mul_f32_e32 v164, v21, v164                              // 0000000045D8: 0B494915
	v_mul_f32_e32 v165, v15, v165                              // 0000000045DC: 0B4B4B0F
	v_mul_f32_e32 v165, v21, v165                              // 0000000045E0: 0B4B4B15
	v_mul_f32_e32 v166, v15, v166                              // 0000000045E4: 0B4D4D0F
	v_mul_f32_e32 v166, v21, v166                              // 0000000045E8: 0B4D4D15
	v_mul_f32_e32 v167, v15, v167                              // 0000000045EC: 0B4F4F0F
	v_mul_f32_e32 v167, v21, v167                              // 0000000045F0: 0B4F4F15
	v_mul_f32_dpp v164, v17, v164 row_newbcast:0 row_mask:0xf bank_mask:0xf// 0000000045F4: 0B4948FA FF015011
	v_mul_f32_dpp v165, v17, v165 row_newbcast:1 row_mask:0xf bank_mask:0xf// 0000000045FC: 0B4B4AFA FF015111
	v_mul_f32_dpp v166, v17, v166 row_newbcast:2 row_mask:0xf bank_mask:0xf// 000000004604: 0B4D4CFA FF015211
	v_mul_f32_dpp v167, v17, v167 row_newbcast:3 row_mask:0xf bank_mask:0xf// 00000000460C: 0B4F4EFA FF015311
	v_mul_f32_e32 v64, v14, v64                                // 000000004614: 0A80810E
	v_mul_f32_e32 v64, v20, v64                                // 000000004618: 0A808114
	v_mul_f32_e32 v65, v14, v65                                // 00000000461C: 0A82830E
	v_mul_f32_e32 v65, v20, v65                                // 000000004620: 0A828314
	v_mul_f32_e32 v66, v14, v66                                // 000000004624: 0A84850E
	v_mul_f32_e32 v66, v20, v66                                // 000000004628: 0A848514
	v_mul_f32_e32 v67, v14, v67                                // 00000000462C: 0A86870E
	v_mul_f32_e32 v67, v20, v67                                // 000000004630: 0A868714
	v_mul_f32_dpp v64, v47, v64 row_newbcast:0 row_mask:0xf bank_mask:0xf// 000000004634: 0A8080FA FF01502F
	v_mul_f32_dpp v65, v47, v65 row_newbcast:1 row_mask:0xf bank_mask:0xf// 00000000463C: 0A8282FA FF01512F
	v_mul_f32_dpp v66, v47, v66 row_newbcast:2 row_mask:0xf bank_mask:0xf// 000000004644: 0A8484FA FF01522F
	v_mul_f32_dpp v67, v47, v67 row_newbcast:3 row_mask:0xf bank_mask:0xf// 00000000464C: 0A8686FA FF01532F
	v_mul_f32_e32 v68, v15, v68                                // 000000004654: 0A88890F
	v_mul_f32_e32 v68, v21, v68                                // 000000004658: 0A888915
	v_mul_f32_e32 v69, v15, v69                                // 00000000465C: 0A8A8B0F
	v_mul_f32_e32 v69, v21, v69                                // 000000004660: 0A8A8B15
	v_mul_f32_e32 v70, v15, v70                                // 000000004664: 0A8C8D0F
	v_mul_f32_e32 v70, v21, v70                                // 000000004668: 0A8C8D15
	v_mul_f32_e32 v71, v15, v71                                // 00000000466C: 0A8E8F0F
	v_mul_f32_e32 v71, v21, v71                                // 000000004670: 0A8E8F15
	v_mul_f32_dpp v68, v47, v68 row_newbcast:0 row_mask:0xf bank_mask:0xf// 000000004674: 0A8888FA FF01502F
	v_mul_f32_dpp v69, v47, v69 row_newbcast:1 row_mask:0xf bank_mask:0xf// 00000000467C: 0A8A8AFA FF01512F
	v_mul_f32_dpp v70, v47, v70 row_newbcast:2 row_mask:0xf bank_mask:0xf// 000000004684: 0A8C8CFA FF01522F
	v_mul_f32_dpp v71, v47, v71 row_newbcast:3 row_mask:0xf bank_mask:0xf// 00000000468C: 0A8E8EFA FF01532F
	v_mul_f32_e32 v72, v14, v72                                // 000000004694: 0A90910E
	v_mul_f32_e32 v72, v20, v72                                // 000000004698: 0A909114
	v_mul_f32_e32 v73, v14, v73                                // 00000000469C: 0A92930E
	v_mul_f32_e32 v73, v20, v73                                // 0000000046A0: 0A929314
	v_mul_f32_e32 v74, v14, v74                                // 0000000046A4: 0A94950E
	v_mul_f32_e32 v74, v20, v74                                // 0000000046A8: 0A949514
	v_mul_f32_e32 v75, v14, v75                                // 0000000046AC: 0A96970E
	v_mul_f32_e32 v75, v20, v75                                // 0000000046B0: 0A969714
	v_mul_f32_dpp v72, v47, v72 row_newbcast:4 row_mask:0xf bank_mask:0xf// 0000000046B4: 0A9090FA FF01542F
	v_mul_f32_dpp v73, v47, v73 row_newbcast:5 row_mask:0xf bank_mask:0xf// 0000000046BC: 0A9292FA FF01552F
	v_mul_f32_dpp v74, v47, v74 row_newbcast:6 row_mask:0xf bank_mask:0xf// 0000000046C4: 0A9494FA FF01562F
	v_mul_f32_dpp v75, v47, v75 row_newbcast:7 row_mask:0xf bank_mask:0xf// 0000000046CC: 0A9696FA FF01572F
	v_mul_f32_e32 v76, v15, v76                                // 0000000046D4: 0A98990F
	v_mul_f32_e32 v76, v21, v76                                // 0000000046D8: 0A989915
	v_mul_f32_e32 v77, v15, v77                                // 0000000046DC: 0A9A9B0F
	v_mul_f32_e32 v77, v21, v77                                // 0000000046E0: 0A9A9B15
	v_mul_f32_e32 v78, v15, v78                                // 0000000046E4: 0A9C9D0F
	v_mul_f32_e32 v78, v21, v78                                // 0000000046E8: 0A9C9D15
	v_mul_f32_e32 v79, v15, v79                                // 0000000046EC: 0A9E9F0F
	v_mul_f32_e32 v79, v21, v79                                // 0000000046F0: 0A9E9F15
	v_mul_f32_dpp v76, v47, v76 row_newbcast:4 row_mask:0xf bank_mask:0xf// 0000000046F4: 0A9898FA FF01542F
	v_mul_f32_dpp v77, v47, v77 row_newbcast:5 row_mask:0xf bank_mask:0xf// 0000000046FC: 0A9A9AFA FF01552F
	v_mul_f32_dpp v78, v47, v78 row_newbcast:6 row_mask:0xf bank_mask:0xf// 000000004704: 0A9C9CFA FF01562F
	v_mul_f32_dpp v79, v47, v79 row_newbcast:7 row_mask:0xf bank_mask:0xf// 00000000470C: 0A9E9EFA FF01572F
	v_mul_f32_e32 v80, v14, v80                                // 000000004714: 0AA0A10E
	v_mul_f32_e32 v80, v20, v80                                // 000000004718: 0AA0A114
	v_mul_f32_e32 v81, v14, v81                                // 00000000471C: 0AA2A30E
	v_mul_f32_e32 v81, v20, v81                                // 000000004720: 0AA2A314
	v_mul_f32_e32 v82, v14, v82                                // 000000004724: 0AA4A50E
	v_mul_f32_e32 v82, v20, v82                                // 000000004728: 0AA4A514
	v_mul_f32_e32 v83, v14, v83                                // 00000000472C: 0AA6A70E
	v_mul_f32_e32 v83, v20, v83                                // 000000004730: 0AA6A714
	v_mul_f32_dpp v80, v47, v80 row_newbcast:8 row_mask:0xf bank_mask:0xf// 000000004734: 0AA0A0FA FF01582F
	v_mul_f32_dpp v81, v47, v81 row_newbcast:9 row_mask:0xf bank_mask:0xf// 00000000473C: 0AA2A2FA FF01592F
	v_mul_f32_dpp v82, v47, v82 row_newbcast:10 row_mask:0xf bank_mask:0xf// 000000004744: 0AA4A4FA FF015A2F
	v_mul_f32_dpp v83, v47, v83 row_newbcast:11 row_mask:0xf bank_mask:0xf// 00000000474C: 0AA6A6FA FF015B2F
	v_mul_f32_e32 v84, v15, v84                                // 000000004754: 0AA8A90F
	v_mul_f32_e32 v84, v21, v84                                // 000000004758: 0AA8A915
	v_mul_f32_e32 v85, v15, v85                                // 00000000475C: 0AAAAB0F
	v_mul_f32_e32 v85, v21, v85                                // 000000004760: 0AAAAB15
	v_mul_f32_e32 v86, v15, v86                                // 000000004764: 0AACAD0F
	v_mul_f32_e32 v86, v21, v86                                // 000000004768: 0AACAD15
	v_mul_f32_e32 v87, v15, v87                                // 00000000476C: 0AAEAF0F
	v_mul_f32_e32 v87, v21, v87                                // 000000004770: 0AAEAF15
	v_mul_f32_dpp v84, v47, v84 row_newbcast:8 row_mask:0xf bank_mask:0xf// 000000004774: 0AA8A8FA FF01582F
	v_mul_f32_dpp v85, v47, v85 row_newbcast:9 row_mask:0xf bank_mask:0xf// 00000000477C: 0AAAAAFA FF01592F
	v_mul_f32_dpp v86, v47, v86 row_newbcast:10 row_mask:0xf bank_mask:0xf// 000000004784: 0AACACFA FF015A2F
	v_mul_f32_dpp v87, v47, v87 row_newbcast:11 row_mask:0xf bank_mask:0xf// 00000000478C: 0AAEAEFA FF015B2F
	v_mul_f32_e32 v88, v14, v88                                // 000000004794: 0AB0B10E
	v_mul_f32_e32 v88, v20, v88                                // 000000004798: 0AB0B114
	v_mul_f32_e32 v89, v14, v89                                // 00000000479C: 0AB2B30E
	v_mul_f32_e32 v89, v20, v89                                // 0000000047A0: 0AB2B314
	v_mul_f32_e32 v90, v14, v90                                // 0000000047A4: 0AB4B50E
	v_mul_f32_e32 v90, v20, v90                                // 0000000047A8: 0AB4B514
	v_mul_f32_e32 v91, v14, v91                                // 0000000047AC: 0AB6B70E
	v_mul_f32_e32 v91, v20, v91                                // 0000000047B0: 0AB6B714
	v_mul_f32_dpp v88, v47, v88 row_newbcast:12 row_mask:0xf bank_mask:0xf// 0000000047B4: 0AB0B0FA FF015C2F
	v_mul_f32_dpp v89, v47, v89 row_newbcast:13 row_mask:0xf bank_mask:0xf// 0000000047BC: 0AB2B2FA FF015D2F
	v_mul_f32_dpp v90, v47, v90 row_newbcast:14 row_mask:0xf bank_mask:0xf// 0000000047C4: 0AB4B4FA FF015E2F
	v_mul_f32_dpp v91, v47, v91 row_newbcast:15 row_mask:0xf bank_mask:0xf// 0000000047CC: 0AB6B6FA FF015F2F
	v_mul_f32_e32 v92, v15, v92                                // 0000000047D4: 0AB8B90F
	v_mul_f32_e32 v92, v21, v92                                // 0000000047D8: 0AB8B915
	v_mul_f32_e32 v93, v15, v93                                // 0000000047DC: 0ABABB0F
	v_mul_f32_e32 v93, v21, v93                                // 0000000047E0: 0ABABB15
	v_mul_f32_e32 v94, v15, v94                                // 0000000047E4: 0ABCBD0F
	v_mul_f32_e32 v94, v21, v94                                // 0000000047E8: 0ABCBD15
	v_mul_f32_e32 v95, v15, v95                                // 0000000047EC: 0ABEBF0F
	v_mul_f32_e32 v95, v21, v95                                // 0000000047F0: 0ABEBF15
	v_mul_f32_dpp v92, v47, v92 row_newbcast:12 row_mask:0xf bank_mask:0xf// 0000000047F4: 0AB8B8FA FF015C2F
	v_mul_f32_dpp v93, v47, v93 row_newbcast:13 row_mask:0xf bank_mask:0xf// 0000000047FC: 0ABABAFA FF015D2F
	v_mul_f32_dpp v94, v47, v94 row_newbcast:14 row_mask:0xf bank_mask:0xf// 000000004804: 0ABCBCFA FF015E2F
	v_mul_f32_dpp v95, v47, v95 row_newbcast:15 row_mask:0xf bank_mask:0xf// 00000000480C: 0ABEBEFA FF015F2F
	v_mul_f32_e32 v96, v14, v96                                // 000000004814: 0AC0C10E
	v_mul_f32_e32 v96, v20, v96                                // 000000004818: 0AC0C114
	v_mul_f32_e32 v97, v14, v97                                // 00000000481C: 0AC2C30E
	v_mul_f32_e32 v97, v20, v97                                // 000000004820: 0AC2C314
	v_mul_f32_e32 v98, v14, v98                                // 000000004824: 0AC4C50E
	v_mul_f32_e32 v98, v20, v98                                // 000000004828: 0AC4C514
	v_mul_f32_e32 v99, v14, v99                                // 00000000482C: 0AC6C70E
	v_mul_f32_e32 v99, v20, v99                                // 000000004830: 0AC6C714
	v_mul_f32_dpp v96, v48, v96 row_newbcast:0 row_mask:0xf bank_mask:0xf// 000000004834: 0AC0C0FA FF015030
	v_mul_f32_dpp v97, v48, v97 row_newbcast:1 row_mask:0xf bank_mask:0xf// 00000000483C: 0AC2C2FA FF015130
	v_mul_f32_dpp v98, v48, v98 row_newbcast:2 row_mask:0xf bank_mask:0xf// 000000004844: 0AC4C4FA FF015230
	v_mul_f32_dpp v99, v48, v99 row_newbcast:3 row_mask:0xf bank_mask:0xf// 00000000484C: 0AC6C6FA FF015330
	v_mul_f32_e32 v100, v15, v100                              // 000000004854: 0AC8C90F
	v_mul_f32_e32 v100, v21, v100                              // 000000004858: 0AC8C915
	v_mul_f32_e32 v101, v15, v101                              // 00000000485C: 0ACACB0F
	v_mul_f32_e32 v101, v21, v101                              // 000000004860: 0ACACB15
	v_mul_f32_e32 v102, v15, v102                              // 000000004864: 0ACCCD0F
	v_mul_f32_e32 v102, v21, v102                              // 000000004868: 0ACCCD15
	v_mul_f32_e32 v103, v15, v103                              // 00000000486C: 0ACECF0F
	v_mul_f32_e32 v103, v21, v103                              // 000000004870: 0ACECF15
	v_mul_f32_dpp v100, v48, v100 row_newbcast:0 row_mask:0xf bank_mask:0xf// 000000004874: 0AC8C8FA FF015030
	v_mul_f32_dpp v101, v48, v101 row_newbcast:1 row_mask:0xf bank_mask:0xf// 00000000487C: 0ACACAFA FF015130
	v_mul_f32_dpp v102, v48, v102 row_newbcast:2 row_mask:0xf bank_mask:0xf// 000000004884: 0ACCCCFA FF015230
	v_mul_f32_dpp v103, v48, v103 row_newbcast:3 row_mask:0xf bank_mask:0xf// 00000000488C: 0ACECEFA FF015330
	s_waitcnt vmcnt(16)                                        // 000000004894: BF8C4F70
	buffer_load_dwordx4 a[0:3], v39, s[12:15], 0 offen         // 000000004898: E05C1000 80830027
	v_mul_f32_e32 v50, v128, v128                              // 0000000048A0: 0A650180
	v_mul_f32_e32 v51, v129, v129                              // 0000000048A4: 0A670381
	v_mul_f32_e32 v52, v130, v130                              // 0000000048A8: 0A690582
	v_mul_f32_e32 v53, v131, v131                              // 0000000048AC: 0A6B0783
	v_fma_f32 v50, v50, s77, v1                                // 0000000048B0: D1CB0032 04049B32
	v_fma_f32 v51, v51, s77, v1                                // 0000000048B8: D1CB0033 04049B33
	v_fma_f32 v52, v52, s77, v1                                // 0000000048C0: D1CB0034 04049B34
	v_fma_f32 v53, v53, s77, v1                                // 0000000048C8: D1CB0035 04049B35
	v_mul_f32_e32 v50, v50, v128                               // 0000000048D0: 0A650132
	v_mul_f32_e32 v51, v51, v129                               // 0000000048D4: 0A670333
	v_mul_f32_e32 v52, v52, v130                               // 0000000048D8: 0A690534
	v_mul_f32_e32 v53, v53, v131                               // 0000000048DC: 0A6B0735
	v_mul_f32_e64 v50, v50, s6                                 // 0000000048E0: D1050032 00000D32
	v_mul_f32_e64 v51, v51, s6                                 // 0000000048E8: D1050033 00000D33
	v_mul_f32_e64 v52, v52, s6                                 // 0000000048F0: D1050034 00000D34
	v_mul_f32_e64 v53, v53, s6                                 // 0000000048F8: D1050035 00000D35
	v_exp_f32_e32 v50, v50                                     // 000000004900: 7E644132
	v_exp_f32_e32 v51, v51                                     // 000000004904: 7E664133
	v_exp_f32_e32 v52, v52                                     // 000000004908: 7E684134
	v_exp_f32_e32 v53, v53                                     // 00000000490C: 7E6A4135
	buffer_load_dwordx4 a[4:7], v40, s[12:15], 0 offen         // 000000004910: E05C1000 80830428
	v_add_f32_e64 v50, v50, 1.0                                // 000000004918: D1010032 0001E532
	v_add_f32_e64 v51, v51, 1.0                                // 000000004920: D1010033 0001E533
	v_add_f32_e64 v52, v52, 1.0                                // 000000004928: D1010034 0001E534
	v_add_f32_e64 v53, v53, 1.0                                // 000000004930: D1010035 0001E535
	v_rcp_f32_e32 v50, v50                                     // 000000004938: 7E644532
	v_rcp_f32_e32 v51, v51                                     // 00000000493C: 7E664533
	v_rcp_f32_e32 v52, v52                                     // 000000004940: 7E684534
	v_rcp_f32_e32 v53, v53                                     // 000000004944: 7E6A4535
	v_mul_f32_e32 v128, v128, v50                              // 000000004948: 0B006580
	v_mul_f32_e32 v129, v129, v51                              // 00000000494C: 0B026781
	v_mul_f32_e32 v130, v130, v52                              // 000000004950: 0B046982
	v_mul_f32_e32 v131, v131, v53                              // 000000004954: 0B066B83
	v_mul_f32_e32 v128, v128, v64                              // 000000004958: 0B008180
	v_mul_f32_e32 v129, v129, v65                              // 00000000495C: 0B028381
	v_mul_f32_e32 v130, v130, v66                              // 000000004960: 0B048582
	v_mul_f32_e32 v131, v131, v67                              // 000000004964: 0B068783
	buffer_load_dwordx4 a[8:11], v41, s[12:15], 0 offen        // 000000004968: E05C1000 80830829
	v_mul_f32_e32 v50, v132, v132                              // 000000004970: 0A650984
	v_mul_f32_e32 v51, v133, v133                              // 000000004974: 0A670B85
	v_mul_f32_e32 v52, v134, v134                              // 000000004978: 0A690D86
	v_mul_f32_e32 v53, v135, v135                              // 00000000497C: 0A6B0F87
	v_fma_f32 v50, v50, s77, v1                                // 000000004980: D1CB0032 04049B32
	v_fma_f32 v51, v51, s77, v1                                // 000000004988: D1CB0033 04049B33
	v_fma_f32 v52, v52, s77, v1                                // 000000004990: D1CB0034 04049B34
	v_fma_f32 v53, v53, s77, v1                                // 000000004998: D1CB0035 04049B35
	v_mul_f32_e32 v50, v50, v132                               // 0000000049A0: 0A650932
	v_mul_f32_e32 v51, v51, v133                               // 0000000049A4: 0A670B33
	v_mul_f32_e32 v52, v52, v134                               // 0000000049A8: 0A690D34
	v_mul_f32_e32 v53, v53, v135                               // 0000000049AC: 0A6B0F35
	v_mul_f32_e64 v50, v50, s6                                 // 0000000049B0: D1050032 00000D32
	v_mul_f32_e64 v51, v51, s6                                 // 0000000049B8: D1050033 00000D33
	v_mul_f32_e64 v52, v52, s6                                 // 0000000049C0: D1050034 00000D34
	v_mul_f32_e64 v53, v53, s6                                 // 0000000049C8: D1050035 00000D35
	v_exp_f32_e32 v50, v50                                     // 0000000049D0: 7E644132
	v_exp_f32_e32 v51, v51                                     // 0000000049D4: 7E664133
	v_exp_f32_e32 v52, v52                                     // 0000000049D8: 7E684134
	v_exp_f32_e32 v53, v53                                     // 0000000049DC: 7E6A4135
	buffer_load_dwordx4 a[12:15], v42, s[12:15], 0 offen       // 0000000049E0: E05C1000 80830C2A
	s_add_u32 s12, s78, s12                                    // 0000000049E8: 800C0C4E
	s_addc_u32 s13, 0, s13                                     // 0000000049EC: 820D0D80
	v_add_f32_e64 v50, v50, 1.0                                // 0000000049F0: D1010032 0001E532
	v_add_f32_e64 v51, v51, 1.0                                // 0000000049F8: D1010033 0001E533
	v_add_f32_e64 v52, v52, 1.0                                // 000000004A00: D1010034 0001E534
	v_add_f32_e64 v53, v53, 1.0                                // 000000004A08: D1010035 0001E535
	v_rcp_f32_e32 v50, v50                                     // 000000004A10: 7E644532
	v_rcp_f32_e32 v51, v51                                     // 000000004A14: 7E664533
	v_rcp_f32_e32 v52, v52                                     // 000000004A18: 7E684534
	v_rcp_f32_e32 v53, v53                                     // 000000004A1C: 7E6A4535
	v_mul_f32_e32 v132, v132, v50                              // 000000004A20: 0B086584
	v_mul_f32_e32 v133, v133, v51                              // 000000004A24: 0B0A6785
	v_mul_f32_e32 v134, v134, v52                              // 000000004A28: 0B0C6986
	v_mul_f32_e32 v135, v135, v53                              // 000000004A2C: 0B0E6B87
	v_mul_f32_e32 v132, v132, v68                              // 000000004A30: 0B088984
	v_mul_f32_e32 v133, v133, v69                              // 000000004A34: 0B0A8B85
	v_mul_f32_e32 v134, v134, v70                              // 000000004A38: 0B0C8D86
	v_mul_f32_e32 v135, v135, v71                              // 000000004A3C: 0B0E8F87
	s_waitcnt vmcnt(16)                                        // 000000004A40: BF8C4F70
	buffer_load_dwordx4 a[16:19], v39, s[12:15], 0 offen       // 000000004A44: E05C1000 80831027
	v_mul_f32_e32 v50, v136, v136                              // 000000004A4C: 0A651188
	v_mul_f32_e32 v51, v137, v137                              // 000000004A50: 0A671389
	v_mul_f32_e32 v52, v138, v138                              // 000000004A54: 0A69158A
	v_mul_f32_e32 v53, v139, v139                              // 000000004A58: 0A6B178B
	v_fma_f32 v50, v50, s77, v1                                // 000000004A5C: D1CB0032 04049B32
	v_fma_f32 v51, v51, s77, v1                                // 000000004A64: D1CB0033 04049B33
	v_fma_f32 v52, v52, s77, v1                                // 000000004A6C: D1CB0034 04049B34
	v_fma_f32 v53, v53, s77, v1                                // 000000004A74: D1CB0035 04049B35
	v_mul_f32_e32 v50, v50, v136                               // 000000004A7C: 0A651132
	v_mul_f32_e32 v51, v51, v137                               // 000000004A80: 0A671333
	v_mul_f32_e32 v52, v52, v138                               // 000000004A84: 0A691534
	v_mul_f32_e32 v53, v53, v139                               // 000000004A88: 0A6B1735
	v_mul_f32_e64 v50, v50, s6                                 // 000000004A8C: D1050032 00000D32
	v_mul_f32_e64 v51, v51, s6                                 // 000000004A94: D1050033 00000D33
	v_mul_f32_e64 v52, v52, s6                                 // 000000004A9C: D1050034 00000D34
	v_mul_f32_e64 v53, v53, s6                                 // 000000004AA4: D1050035 00000D35
	v_exp_f32_e32 v50, v50                                     // 000000004AAC: 7E644132
	v_exp_f32_e32 v51, v51                                     // 000000004AB0: 7E664133
	v_exp_f32_e32 v52, v52                                     // 000000004AB4: 7E684134
	v_exp_f32_e32 v53, v53                                     // 000000004AB8: 7E6A4135
	buffer_load_dwordx4 a[20:23], v40, s[12:15], 0 offen       // 000000004ABC: E05C1000 80831428
	v_add_f32_e64 v50, v50, 1.0                                // 000000004AC4: D1010032 0001E532
	v_add_f32_e64 v51, v51, 1.0                                // 000000004ACC: D1010033 0001E533
	v_add_f32_e64 v52, v52, 1.0                                // 000000004AD4: D1010034 0001E534
	v_add_f32_e64 v53, v53, 1.0                                // 000000004ADC: D1010035 0001E535
	v_rcp_f32_e32 v50, v50                                     // 000000004AE4: 7E644532
	v_rcp_f32_e32 v51, v51                                     // 000000004AE8: 7E664533
	v_rcp_f32_e32 v52, v52                                     // 000000004AEC: 7E684534
	v_rcp_f32_e32 v53, v53                                     // 000000004AF0: 7E6A4535
	v_mul_f32_e32 v136, v136, v50                              // 000000004AF4: 0B106588
	v_mul_f32_e32 v137, v137, v51                              // 000000004AF8: 0B126789
	v_mul_f32_e32 v138, v138, v52                              // 000000004AFC: 0B14698A
	v_mul_f32_e32 v139, v139, v53                              // 000000004B00: 0B166B8B
	v_mul_f32_e32 v136, v136, v72                              // 000000004B04: 0B109188
	v_mul_f32_e32 v137, v137, v73                              // 000000004B08: 0B129389
	v_mul_f32_e32 v138, v138, v74                              // 000000004B0C: 0B14958A
	v_mul_f32_e32 v139, v139, v75                              // 000000004B10: 0B16978B
	buffer_load_dwordx4 a[24:27], v41, s[12:15], 0 offen       // 000000004B14: E05C1000 80831829
	v_mul_f32_e32 v50, v140, v140                              // 000000004B1C: 0A65198C
	v_mul_f32_e32 v51, v141, v141                              // 000000004B20: 0A671B8D
	v_mul_f32_e32 v52, v142, v142                              // 000000004B24: 0A691D8E
	v_mul_f32_e32 v53, v143, v143                              // 000000004B28: 0A6B1F8F
	v_fma_f32 v50, v50, s77, v1                                // 000000004B2C: D1CB0032 04049B32
	v_fma_f32 v51, v51, s77, v1                                // 000000004B34: D1CB0033 04049B33
	v_fma_f32 v52, v52, s77, v1                                // 000000004B3C: D1CB0034 04049B34
	v_fma_f32 v53, v53, s77, v1                                // 000000004B44: D1CB0035 04049B35
	v_mul_f32_e32 v50, v50, v140                               // 000000004B4C: 0A651932
	v_mul_f32_e32 v51, v51, v141                               // 000000004B50: 0A671B33
	v_mul_f32_e32 v52, v52, v142                               // 000000004B54: 0A691D34
	v_mul_f32_e32 v53, v53, v143                               // 000000004B58: 0A6B1F35
	v_mul_f32_e64 v50, v50, s6                                 // 000000004B5C: D1050032 00000D32
	v_mul_f32_e64 v51, v51, s6                                 // 000000004B64: D1050033 00000D33
	v_mul_f32_e64 v52, v52, s6                                 // 000000004B6C: D1050034 00000D34
	v_mul_f32_e64 v53, v53, s6                                 // 000000004B74: D1050035 00000D35
	v_exp_f32_e32 v50, v50                                     // 000000004B7C: 7E644132
	v_exp_f32_e32 v51, v51                                     // 000000004B80: 7E664133
	v_exp_f32_e32 v52, v52                                     // 000000004B84: 7E684134
	v_exp_f32_e32 v53, v53                                     // 000000004B88: 7E6A4135
	buffer_load_dwordx4 a[28:31], v42, s[12:15], 0 offen       // 000000004B8C: E05C1000 80831C2A
	s_add_u32 s12, s78, s12                                    // 000000004B94: 800C0C4E
	s_addc_u32 s13, 0, s13                                     // 000000004B98: 820D0D80
	v_add_f32_e64 v50, v50, 1.0                                // 000000004B9C: D1010032 0001E532
	v_add_f32_e64 v51, v51, 1.0                                // 000000004BA4: D1010033 0001E533
	v_add_f32_e64 v52, v52, 1.0                                // 000000004BAC: D1010034 0001E534
	v_add_f32_e64 v53, v53, 1.0                                // 000000004BB4: D1010035 0001E535
	v_rcp_f32_e32 v50, v50                                     // 000000004BBC: 7E644532
	v_rcp_f32_e32 v51, v51                                     // 000000004BC0: 7E664533
	v_rcp_f32_e32 v52, v52                                     // 000000004BC4: 7E684534
	v_rcp_f32_e32 v53, v53                                     // 000000004BC8: 7E6A4535
	v_mul_f32_e32 v140, v140, v50                              // 000000004BCC: 0B18658C
	v_mul_f32_e32 v141, v141, v51                              // 000000004BD0: 0B1A678D
	v_mul_f32_e32 v142, v142, v52                              // 000000004BD4: 0B1C698E
	v_mul_f32_e32 v143, v143, v53                              // 000000004BD8: 0B1E6B8F
	v_mul_f32_e32 v140, v140, v76                              // 000000004BDC: 0B18998C
	v_mul_f32_e32 v141, v141, v77                              // 000000004BE0: 0B1A9B8D
	v_mul_f32_e32 v142, v142, v78                              // 000000004BE4: 0B1C9D8E
	v_mul_f32_e32 v143, v143, v79                              // 000000004BE8: 0B1E9F8F
	s_waitcnt vmcnt(16)                                        // 000000004BEC: BF8C4F70
	buffer_load_dwordx4 a[32:35], v39, s[12:15], 0 offen       // 000000004BF0: E05C1000 80832027
	v_mul_f32_e32 v50, v144, v144                              // 000000004BF8: 0A652190
	v_mul_f32_e32 v51, v145, v145                              // 000000004BFC: 0A672391
	v_mul_f32_e32 v52, v146, v146                              // 000000004C00: 0A692592
	v_mul_f32_e32 v53, v147, v147                              // 000000004C04: 0A6B2793
	v_fma_f32 v50, v50, s77, v1                                // 000000004C08: D1CB0032 04049B32
	v_fma_f32 v51, v51, s77, v1                                // 000000004C10: D1CB0033 04049B33
	v_fma_f32 v52, v52, s77, v1                                // 000000004C18: D1CB0034 04049B34
	v_fma_f32 v53, v53, s77, v1                                // 000000004C20: D1CB0035 04049B35
	v_mul_f32_e32 v50, v50, v144                               // 000000004C28: 0A652132
	v_mul_f32_e32 v51, v51, v145                               // 000000004C2C: 0A672333
	v_mul_f32_e32 v52, v52, v146                               // 000000004C30: 0A692534
	v_mul_f32_e32 v53, v53, v147                               // 000000004C34: 0A6B2735
	v_mul_f32_e64 v50, v50, s6                                 // 000000004C38: D1050032 00000D32
	v_mul_f32_e64 v51, v51, s6                                 // 000000004C40: D1050033 00000D33
	v_mul_f32_e64 v52, v52, s6                                 // 000000004C48: D1050034 00000D34
	v_mul_f32_e64 v53, v53, s6                                 // 000000004C50: D1050035 00000D35
	v_exp_f32_e32 v50, v50                                     // 000000004C58: 7E644132
	v_exp_f32_e32 v51, v51                                     // 000000004C5C: 7E664133
	v_exp_f32_e32 v52, v52                                     // 000000004C60: 7E684134
	v_exp_f32_e32 v53, v53                                     // 000000004C64: 7E6A4135
	buffer_load_dwordx4 a[36:39], v40, s[12:15], 0 offen       // 000000004C68: E05C1000 80832428
	v_add_f32_e64 v50, v50, 1.0                                // 000000004C70: D1010032 0001E532
	v_add_f32_e64 v51, v51, 1.0                                // 000000004C78: D1010033 0001E533
	v_add_f32_e64 v52, v52, 1.0                                // 000000004C80: D1010034 0001E534
	v_add_f32_e64 v53, v53, 1.0                                // 000000004C88: D1010035 0001E535
	v_rcp_f32_e32 v50, v50                                     // 000000004C90: 7E644532
	v_rcp_f32_e32 v51, v51                                     // 000000004C94: 7E664533
	v_rcp_f32_e32 v52, v52                                     // 000000004C98: 7E684534
	v_rcp_f32_e32 v53, v53                                     // 000000004C9C: 7E6A4535
	v_mul_f32_e32 v144, v144, v50                              // 000000004CA0: 0B206590
	v_mul_f32_e32 v145, v145, v51                              // 000000004CA4: 0B226791
	v_mul_f32_e32 v146, v146, v52                              // 000000004CA8: 0B246992
	v_mul_f32_e32 v147, v147, v53                              // 000000004CAC: 0B266B93
	v_mul_f32_e32 v144, v144, v80                              // 000000004CB0: 0B20A190
	v_mul_f32_e32 v145, v145, v81                              // 000000004CB4: 0B22A391
	v_mul_f32_e32 v146, v146, v82                              // 000000004CB8: 0B24A592
	v_mul_f32_e32 v147, v147, v83                              // 000000004CBC: 0B26A793
	buffer_load_dwordx4 a[40:43], v41, s[12:15], 0 offen       // 000000004CC0: E05C1000 80832829
	v_mul_f32_e32 v50, v148, v148                              // 000000004CC8: 0A652994
	v_mul_f32_e32 v51, v149, v149                              // 000000004CCC: 0A672B95
	v_mul_f32_e32 v52, v150, v150                              // 000000004CD0: 0A692D96
	v_mul_f32_e32 v53, v151, v151                              // 000000004CD4: 0A6B2F97
	v_fma_f32 v50, v50, s77, v1                                // 000000004CD8: D1CB0032 04049B32
	v_fma_f32 v51, v51, s77, v1                                // 000000004CE0: D1CB0033 04049B33
	v_fma_f32 v52, v52, s77, v1                                // 000000004CE8: D1CB0034 04049B34
	v_fma_f32 v53, v53, s77, v1                                // 000000004CF0: D1CB0035 04049B35
	v_mul_f32_e32 v50, v50, v148                               // 000000004CF8: 0A652932
	v_mul_f32_e32 v51, v51, v149                               // 000000004CFC: 0A672B33
	v_mul_f32_e32 v52, v52, v150                               // 000000004D00: 0A692D34
	v_mul_f32_e32 v53, v53, v151                               // 000000004D04: 0A6B2F35
	v_mul_f32_e64 v50, v50, s6                                 // 000000004D08: D1050032 00000D32
	v_mul_f32_e64 v51, v51, s6                                 // 000000004D10: D1050033 00000D33
	v_mul_f32_e64 v52, v52, s6                                 // 000000004D18: D1050034 00000D34
	v_mul_f32_e64 v53, v53, s6                                 // 000000004D20: D1050035 00000D35
	v_exp_f32_e32 v50, v50                                     // 000000004D28: 7E644132
	v_exp_f32_e32 v51, v51                                     // 000000004D2C: 7E664133
	v_exp_f32_e32 v52, v52                                     // 000000004D30: 7E684134
	v_exp_f32_e32 v53, v53                                     // 000000004D34: 7E6A4135
	buffer_load_dwordx4 a[44:47], v42, s[12:15], 0 offen       // 000000004D38: E05C1000 80832C2A
	s_add_u32 s12, s78, s12                                    // 000000004D40: 800C0C4E
	s_addc_u32 s13, 0, s13                                     // 000000004D44: 820D0D80
	v_add_f32_e64 v50, v50, 1.0                                // 000000004D48: D1010032 0001E532
	v_add_f32_e64 v51, v51, 1.0                                // 000000004D50: D1010033 0001E533
	v_add_f32_e64 v52, v52, 1.0                                // 000000004D58: D1010034 0001E534
	v_add_f32_e64 v53, v53, 1.0                                // 000000004D60: D1010035 0001E535
	v_rcp_f32_e32 v50, v50                                     // 000000004D68: 7E644532
	v_rcp_f32_e32 v51, v51                                     // 000000004D6C: 7E664533
	v_rcp_f32_e32 v52, v52                                     // 000000004D70: 7E684534
	v_rcp_f32_e32 v53, v53                                     // 000000004D74: 7E6A4535
	v_mul_f32_e32 v148, v148, v50                              // 000000004D78: 0B286594
	v_mul_f32_e32 v149, v149, v51                              // 000000004D7C: 0B2A6795
	v_mul_f32_e32 v150, v150, v52                              // 000000004D80: 0B2C6996
	v_mul_f32_e32 v151, v151, v53                              // 000000004D84: 0B2E6B97
	v_mul_f32_e32 v148, v148, v84                              // 000000004D88: 0B28A994
	v_mul_f32_e32 v149, v149, v85                              // 000000004D8C: 0B2AAB95
	v_mul_f32_e32 v150, v150, v86                              // 000000004D90: 0B2CAD96
	v_mul_f32_e32 v151, v151, v87                              // 000000004D94: 0B2EAF97
	s_waitcnt vmcnt(16)                                        // 000000004D98: BF8C4F70
	buffer_load_dwordx4 a[48:51], v39, s[12:15], 0 offen       // 000000004D9C: E05C1000 80833027
	v_mul_f32_e32 v50, v152, v152                              // 000000004DA4: 0A653198
	v_mul_f32_e32 v51, v153, v153                              // 000000004DA8: 0A673399
	v_mul_f32_e32 v52, v154, v154                              // 000000004DAC: 0A69359A
	v_mul_f32_e32 v53, v155, v155                              // 000000004DB0: 0A6B379B
	v_fma_f32 v50, v50, s77, v1                                // 000000004DB4: D1CB0032 04049B32
	v_fma_f32 v51, v51, s77, v1                                // 000000004DBC: D1CB0033 04049B33
	v_fma_f32 v52, v52, s77, v1                                // 000000004DC4: D1CB0034 04049B34
	v_fma_f32 v53, v53, s77, v1                                // 000000004DCC: D1CB0035 04049B35
	v_mul_f32_e32 v50, v50, v152                               // 000000004DD4: 0A653132
	v_mul_f32_e32 v51, v51, v153                               // 000000004DD8: 0A673333
	v_mul_f32_e32 v52, v52, v154                               // 000000004DDC: 0A693534
	v_mul_f32_e32 v53, v53, v155                               // 000000004DE0: 0A6B3735
	v_mul_f32_e64 v50, v50, s6                                 // 000000004DE4: D1050032 00000D32
	v_mul_f32_e64 v51, v51, s6                                 // 000000004DEC: D1050033 00000D33
	v_mul_f32_e64 v52, v52, s6                                 // 000000004DF4: D1050034 00000D34
	v_mul_f32_e64 v53, v53, s6                                 // 000000004DFC: D1050035 00000D35
	v_exp_f32_e32 v50, v50                                     // 000000004E04: 7E644132
	v_exp_f32_e32 v51, v51                                     // 000000004E08: 7E664133
	v_exp_f32_e32 v52, v52                                     // 000000004E0C: 7E684134
	v_exp_f32_e32 v53, v53                                     // 000000004E10: 7E6A4135
	buffer_load_dwordx4 a[52:55], v40, s[12:15], 0 offen       // 000000004E14: E05C1000 80833428
	v_add_f32_e64 v50, v50, 1.0                                // 000000004E1C: D1010032 0001E532
	v_add_f32_e64 v51, v51, 1.0                                // 000000004E24: D1010033 0001E533
	v_add_f32_e64 v52, v52, 1.0                                // 000000004E2C: D1010034 0001E534
	v_add_f32_e64 v53, v53, 1.0                                // 000000004E34: D1010035 0001E535
	v_rcp_f32_e32 v50, v50                                     // 000000004E3C: 7E644532
	v_rcp_f32_e32 v51, v51                                     // 000000004E40: 7E664533
	v_rcp_f32_e32 v52, v52                                     // 000000004E44: 7E684534
	v_rcp_f32_e32 v53, v53                                     // 000000004E48: 7E6A4535
	v_mul_f32_e32 v152, v152, v50                              // 000000004E4C: 0B306598
	v_mul_f32_e32 v153, v153, v51                              // 000000004E50: 0B326799
	v_mul_f32_e32 v154, v154, v52                              // 000000004E54: 0B34699A
	v_mul_f32_e32 v155, v155, v53                              // 000000004E58: 0B366B9B
	v_mul_f32_e32 v152, v152, v88                              // 000000004E5C: 0B30B198
	v_mul_f32_e32 v153, v153, v89                              // 000000004E60: 0B32B399
	v_mul_f32_e32 v154, v154, v90                              // 000000004E64: 0B34B59A
	v_mul_f32_e32 v155, v155, v91                              // 000000004E68: 0B36B79B
	buffer_load_dwordx4 a[56:59], v41, s[12:15], 0 offen       // 000000004E6C: E05C1000 80833829
	v_mul_f32_e32 v50, v156, v156                              // 000000004E74: 0A65399C
	v_mul_f32_e32 v51, v157, v157                              // 000000004E78: 0A673B9D
	v_mul_f32_e32 v52, v158, v158                              // 000000004E7C: 0A693D9E
	v_mul_f32_e32 v53, v159, v159                              // 000000004E80: 0A6B3F9F
	v_fma_f32 v50, v50, s77, v1                                // 000000004E84: D1CB0032 04049B32
	v_fma_f32 v51, v51, s77, v1                                // 000000004E8C: D1CB0033 04049B33
	v_fma_f32 v52, v52, s77, v1                                // 000000004E94: D1CB0034 04049B34
	v_fma_f32 v53, v53, s77, v1                                // 000000004E9C: D1CB0035 04049B35
	v_mul_f32_e32 v50, v50, v156                               // 000000004EA4: 0A653932
	v_mul_f32_e32 v51, v51, v157                               // 000000004EA8: 0A673B33
	v_mul_f32_e32 v52, v52, v158                               // 000000004EAC: 0A693D34
	v_mul_f32_e32 v53, v53, v159                               // 000000004EB0: 0A6B3F35
	v_mul_f32_e64 v50, v50, s6                                 // 000000004EB4: D1050032 00000D32
	v_mul_f32_e64 v51, v51, s6                                 // 000000004EBC: D1050033 00000D33
	v_mul_f32_e64 v52, v52, s6                                 // 000000004EC4: D1050034 00000D34
	v_mul_f32_e64 v53, v53, s6                                 // 000000004ECC: D1050035 00000D35
	v_exp_f32_e32 v50, v50                                     // 000000004ED4: 7E644132
	v_exp_f32_e32 v51, v51                                     // 000000004ED8: 7E664133
	v_exp_f32_e32 v52, v52                                     // 000000004EDC: 7E684134
	v_exp_f32_e32 v53, v53                                     // 000000004EE0: 7E6A4135
	buffer_load_dwordx4 a[60:63], v42, s[12:15], 0 offen       // 000000004EE4: E05C1000 80833C2A
	s_add_u32 s12, s78, s12                                    // 000000004EEC: 800C0C4E
	s_addc_u32 s13, 0, s13                                     // 000000004EF0: 820D0D80
	v_add_f32_e64 v50, v50, 1.0                                // 000000004EF4: D1010032 0001E532
	v_add_f32_e64 v51, v51, 1.0                                // 000000004EFC: D1010033 0001E533
	v_add_f32_e64 v52, v52, 1.0                                // 000000004F04: D1010034 0001E534
	v_add_f32_e64 v53, v53, 1.0                                // 000000004F0C: D1010035 0001E535
	v_rcp_f32_e32 v50, v50                                     // 000000004F14: 7E644532
	v_rcp_f32_e32 v51, v51                                     // 000000004F18: 7E664533
	v_rcp_f32_e32 v52, v52                                     // 000000004F1C: 7E684534
	v_rcp_f32_e32 v53, v53                                     // 000000004F20: 7E6A4535
	v_mul_f32_e32 v156, v156, v50                              // 000000004F24: 0B38659C
	v_mul_f32_e32 v157, v157, v51                              // 000000004F28: 0B3A679D
	v_mul_f32_e32 v158, v158, v52                              // 000000004F2C: 0B3C699E
	v_mul_f32_e32 v159, v159, v53                              // 000000004F30: 0B3E6B9F
	v_mul_f32_e32 v156, v156, v92                              // 000000004F34: 0B38B99C
	v_mul_f32_e32 v157, v157, v93                              // 000000004F38: 0B3ABB9D
	v_mul_f32_e32 v158, v158, v94                              // 000000004F3C: 0B3CBD9E
	v_mul_f32_e32 v159, v159, v95                              // 000000004F40: 0B3EBF9F
	s_waitcnt vmcnt(16)                                        // 000000004F44: BF8C4F70
	buffer_load_dwordx4 a[64:67], v39, s[12:15], 0 offen       // 000000004F48: E05C1000 80834027
	v_mul_f32_e32 v50, v160, v160                              // 000000004F50: 0A6541A0
	v_mul_f32_e32 v51, v161, v161                              // 000000004F54: 0A6743A1
	v_mul_f32_e32 v52, v162, v162                              // 000000004F58: 0A6945A2
	v_mul_f32_e32 v53, v163, v163                              // 000000004F5C: 0A6B47A3
	v_fma_f32 v50, v50, s77, v1                                // 000000004F60: D1CB0032 04049B32
	v_fma_f32 v51, v51, s77, v1                                // 000000004F68: D1CB0033 04049B33
	v_fma_f32 v52, v52, s77, v1                                // 000000004F70: D1CB0034 04049B34
	v_fma_f32 v53, v53, s77, v1                                // 000000004F78: D1CB0035 04049B35
	v_mul_f32_e32 v50, v50, v160                               // 000000004F80: 0A654132
	v_mul_f32_e32 v51, v51, v161                               // 000000004F84: 0A674333
	v_mul_f32_e32 v52, v52, v162                               // 000000004F88: 0A694534
	v_mul_f32_e32 v53, v53, v163                               // 000000004F8C: 0A6B4735
	v_mul_f32_e64 v50, v50, s6                                 // 000000004F90: D1050032 00000D32
	v_mul_f32_e64 v51, v51, s6                                 // 000000004F98: D1050033 00000D33
	v_mul_f32_e64 v52, v52, s6                                 // 000000004FA0: D1050034 00000D34
	v_mul_f32_e64 v53, v53, s6                                 // 000000004FA8: D1050035 00000D35
	v_exp_f32_e32 v50, v50                                     // 000000004FB0: 7E644132
	v_exp_f32_e32 v51, v51                                     // 000000004FB4: 7E664133
	v_exp_f32_e32 v52, v52                                     // 000000004FB8: 7E684134
	v_exp_f32_e32 v53, v53                                     // 000000004FBC: 7E6A4135
	buffer_load_dwordx4 a[68:71], v40, s[12:15], 0 offen       // 000000004FC0: E05C1000 80834428
	v_add_f32_e64 v50, v50, 1.0                                // 000000004FC8: D1010032 0001E532
	v_add_f32_e64 v51, v51, 1.0                                // 000000004FD0: D1010033 0001E533
	v_add_f32_e64 v52, v52, 1.0                                // 000000004FD8: D1010034 0001E534
	v_add_f32_e64 v53, v53, 1.0                                // 000000004FE0: D1010035 0001E535
	v_rcp_f32_e32 v50, v50                                     // 000000004FE8: 7E644532
	v_rcp_f32_e32 v51, v51                                     // 000000004FEC: 7E664533
	v_rcp_f32_e32 v52, v52                                     // 000000004FF0: 7E684534
	v_rcp_f32_e32 v53, v53                                     // 000000004FF4: 7E6A4535
	v_mul_f32_e32 v160, v160, v50                              // 000000004FF8: 0B4065A0
	v_mul_f32_e32 v161, v161, v51                              // 000000004FFC: 0B4267A1
	v_mul_f32_e32 v162, v162, v52                              // 000000005000: 0B4469A2
	v_mul_f32_e32 v163, v163, v53                              // 000000005004: 0B466BA3
	v_mul_f32_e32 v160, v160, v96                              // 000000005008: 0B40C1A0
	v_mul_f32_e32 v161, v161, v97                              // 00000000500C: 0B42C3A1
	v_mul_f32_e32 v162, v162, v98                              // 000000005010: 0B44C5A2
	v_mul_f32_e32 v163, v163, v99                              // 000000005014: 0B46C7A3
	buffer_load_dwordx4 a[72:75], v41, s[12:15], 0 offen       // 000000005018: E05C1000 80834829
	v_mul_f32_e32 v50, v164, v164                              // 000000005020: 0A6549A4
	v_mul_f32_e32 v51, v165, v165                              // 000000005024: 0A674BA5
	v_mul_f32_e32 v52, v166, v166                              // 000000005028: 0A694DA6
	v_mul_f32_e32 v53, v167, v167                              // 00000000502C: 0A6B4FA7
	v_fma_f32 v50, v50, s77, v1                                // 000000005030: D1CB0032 04049B32
	v_fma_f32 v51, v51, s77, v1                                // 000000005038: D1CB0033 04049B33
	v_fma_f32 v52, v52, s77, v1                                // 000000005040: D1CB0034 04049B34
	v_fma_f32 v53, v53, s77, v1                                // 000000005048: D1CB0035 04049B35
	v_mul_f32_e32 v50, v50, v164                               // 000000005050: 0A654932
	v_mul_f32_e32 v51, v51, v165                               // 000000005054: 0A674B33
	v_mul_f32_e32 v52, v52, v166                               // 000000005058: 0A694D34
	v_mul_f32_e32 v53, v53, v167                               // 00000000505C: 0A6B4F35
	v_mul_f32_e64 v50, v50, s6                                 // 000000005060: D1050032 00000D32
	v_mul_f32_e64 v51, v51, s6                                 // 000000005068: D1050033 00000D33
	v_mul_f32_e64 v52, v52, s6                                 // 000000005070: D1050034 00000D34
	v_mul_f32_e64 v53, v53, s6                                 // 000000005078: D1050035 00000D35
	v_exp_f32_e32 v50, v50                                     // 000000005080: 7E644132
	v_exp_f32_e32 v51, v51                                     // 000000005084: 7E664133
	v_exp_f32_e32 v52, v52                                     // 000000005088: 7E684134
	v_exp_f32_e32 v53, v53                                     // 00000000508C: 7E6A4135
	buffer_load_dwordx4 a[76:79], v42, s[12:15], 0 offen       // 000000005090: E05C1000 80834C2A
	v_add_f32_e64 v50, v50, 1.0                                // 000000005098: D1010032 0001E532
	v_add_f32_e64 v51, v51, 1.0                                // 0000000050A0: D1010033 0001E533
	v_add_f32_e64 v52, v52, 1.0                                // 0000000050A8: D1010034 0001E534
	v_add_f32_e64 v53, v53, 1.0                                // 0000000050B0: D1010035 0001E535
	v_rcp_f32_e32 v50, v50                                     // 0000000050B8: 7E644532
	v_rcp_f32_e32 v51, v51                                     // 0000000050BC: 7E664533
	v_rcp_f32_e32 v52, v52                                     // 0000000050C0: 7E684534
	v_rcp_f32_e32 v53, v53                                     // 0000000050C4: 7E6A4535
	v_mul_f32_e32 v164, v164, v50                              // 0000000050C8: 0B4865A4
	v_mul_f32_e32 v165, v165, v51                              // 0000000050CC: 0B4A67A5
	v_mul_f32_e32 v166, v166, v52                              // 0000000050D0: 0B4C69A6
	v_mul_f32_e32 v167, v167, v53                              // 0000000050D4: 0B4E6BA7
	v_mul_f32_e32 v164, v164, v100                             // 0000000050D8: 0B48C9A4
	v_mul_f32_e32 v165, v165, v101                             // 0000000050DC: 0B4ACBA5
	v_mul_f32_e32 v166, v166, v102                             // 0000000050E0: 0B4CCDA6
	v_mul_f32_e32 v167, v167, v103                             // 0000000050E4: 0B4ECFA7
	v_lshlrev_b32_e32 v50, 2, v0                               // 0000000050E8: 24640082
	s_mul_i32 s60, s82, s71                                    // 0000000050EC: 923C4752
	v_add_u32_e64 v80, v50, s60                                // 0000000050F0: D1340050 00007932
	v_mov_b32_e32 v81, 0                                       // 0000000050F8: 7EA20280
	s_mul_i32 s60, s83, s71                                    // 0000000050FC: 923C4753
	v_add_u32_e64 v82, v50, s60                                // 000000005100: D1340052 00007932
	v_mov_b32_e32 v83, 0                                       // 000000005108: 7EA60280
	s_mul_i32 s60, s84, s71                                    // 00000000510C: 923C4754
	v_add_u32_e64 v84, v50, s60                                // 000000005110: D1340054 00007932
	v_mov_b32_e32 v85, 0                                       // 000000005118: 7EAA0280
	s_mul_i32 s60, s85, s71                                    // 00000000511C: 923C4755
	v_add_u32_e64 v86, v50, s60                                // 000000005120: D1340056 00007932
	v_mov_b32_e32 v87, 0                                       // 000000005128: 7EAE0280
	s_mul_i32 s60, s86, s71                                    // 00000000512C: 923C4756
	v_add_u32_e64 v88, v50, s60                                // 000000005130: D1340058 00007932
	v_mov_b32_e32 v89, 0                                       // 000000005138: 7EB20280
	s_mul_i32 s60, s87, s71                                    // 00000000513C: 923C4757
	v_add_u32_e64 v90, v50, s60                                // 000000005140: D134005A 00007932
	v_mov_b32_e32 v91, 0                                       // 000000005148: 7EB60280
	s_mul_i32 s60, s88, s71                                    // 00000000514C: 923C4758
	v_add_u32_e64 v92, v50, s60                                // 000000005150: D134005C 00007932
	v_mov_b32_e32 v93, 0                                       // 000000005158: 7EBA0280
	s_mul_i32 s60, s89, s71                                    // 00000000515C: 923C4759
	v_add_u32_e64 v94, v50, s60                                // 000000005160: D134005E 00007932
	v_mov_b32_e32 v95, 0                                       // 000000005168: 7EBE0280
	buffer_load_dword v12, v5, s[16:19], 0 offen               // 00000000516C: E0501000 80040C05
	v_mov_b32_e32 v22, 0x358637bd                              // 000000005174: 7E2C02FF 358637BD
	v_mov_b32_e32 v23, 0x358637bd                              // 00000000517C: 7E2E02FF 358637BD
	v_max3_f32 v22, |v128|, |v129|, v22                        // 000000005184: D1D30316 045B0380
	v_max3_f32 v22, |v130|, |v131|, v22                        // 00000000518C: D1D30316 045B0782
	v_max3_f32 v23, |v132|, |v133|, v23                        // 000000005194: D1D30317 045F0B84
	v_max3_f32 v23, |v134|, |v135|, v23                        // 00000000519C: D1D30317 045F0F86
	v_max3_f32 v22, |v136|, |v137|, v22                        // 0000000051A4: D1D30316 045B1388
	v_max3_f32 v22, |v138|, |v139|, v22                        // 0000000051AC: D1D30316 045B178A
	v_max3_f32 v23, |v140|, |v141|, v23                        // 0000000051B4: D1D30317 045F1B8C
	v_max3_f32 v23, |v142|, |v143|, v23                        // 0000000051BC: D1D30317 045F1F8E
	v_max3_f32 v22, |v144|, |v145|, v22                        // 0000000051C4: D1D30316 045B2390
	v_max3_f32 v22, |v146|, |v147|, v22                        // 0000000051CC: D1D30316 045B2792
	v_max3_f32 v23, |v148|, |v149|, v23                        // 0000000051D4: D1D30317 045F2B94
	v_max3_f32 v23, |v150|, |v151|, v23                        // 0000000051DC: D1D30317 045F2F96
	v_max3_f32 v22, |v152|, |v153|, v22                        // 0000000051E4: D1D30316 045B3398
	v_max3_f32 v22, |v154|, |v155|, v22                        // 0000000051EC: D1D30316 045B379A
	v_max3_f32 v23, |v156|, |v157|, v23                        // 0000000051F4: D1D30317 045F3B9C
	v_max3_f32 v23, |v158|, |v159|, v23                        // 0000000051FC: D1D30317 045F3F9E
	v_max3_f32 v22, |v160|, |v161|, v22                        // 000000005204: D1D30316 045B43A0
	v_max3_f32 v22, |v162|, |v163|, v22                        // 00000000520C: D1D30316 045B47A2
	v_max3_f32 v23, |v164|, |v165|, v23                        // 000000005214: D1D30317 045F4BA4
	v_max3_f32 v23, |v166|, |v167|, v23                        // 00000000521C: D1D30317 045F4FA6
	v_lshlrev_b32_e32 v50, 3, v0                               // 000000005224: 24640083
	s_mul_i32 s60, 0x200, s7                                   // 000000005228: 923C07FF 00000200
	v_add_u32_e32 v50, s60, v50                                // 000000005230: 6864643C
	ds_write_b64 v50, v[22:23] offset:16640                    // 000000005234: D89A4100 00001632
	s_waitcnt lgkmcnt(0)                                       // 00000000523C: BF8CC07F
	s_barrier                                                  // 000000005240: BF8A0000
	v_and_b32_e32 v50, 15, v0                                  // 000000005244: 2664008F
	v_lshlrev_b32_e32 v50, 3, v50                              // 000000005248: 24646483
	ds_read_b64 v[96:97], v50 offset:16640                     // 00000000524C: D8EC4100 60000032
	ds_read_b64 v[98:99], v50 offset:16768                     // 000000005254: D8EC4180 62000032
	ds_read_b64 v[100:101], v50 offset:16896                   // 00000000525C: D8EC4200 64000032
	ds_read_b64 v[102:103], v50 offset:17024                   // 000000005264: D8EC4280 66000032
	ds_read_b64 v[104:105], v50 offset:17152                   // 00000000526C: D8EC4300 68000032
	ds_read_b64 v[106:107], v50 offset:17280                   // 000000005274: D8EC4380 6A000032
	ds_read_b64 v[108:109], v50 offset:17408                   // 00000000527C: D8EC4400 6C000032
	ds_read_b64 v[110:111], v50 offset:17536                   // 000000005284: D8EC4480 6E000032
	ds_read_b64 v[112:113], v50 offset:17664                   // 00000000528C: D8EC4500 70000032
	ds_read_b64 v[114:115], v50 offset:17792                   // 000000005294: D8EC4580 72000032
	ds_read_b64 v[116:117], v50 offset:17920                   // 00000000529C: D8EC4600 74000032
	ds_read_b64 v[118:119], v50 offset:18048                   // 0000000052A4: D8EC4680 76000032
	ds_read_b64 v[120:121], v50 offset:18176                   // 0000000052AC: D8EC4700 78000032
	ds_read_b64 v[122:123], v50 offset:18304                   // 0000000052B4: D8EC4780 7A000032
	ds_read_b64 v[124:125], v50 offset:18432                   // 0000000052BC: D8EC4800 7C000032
	ds_read_b64 v[126:127], v50 offset:18560                   // 0000000052C4: D8EC4880 7E000032
	s_waitcnt lgkmcnt(0)                                       // 0000000052CC: BF8CC07F
	v_max3_f32 v22, |v96|, |v98|, v22                          // 0000000052D0: D1D30316 045AC560
	v_max3_f32 v23, |v97|, |v99|, v23                          // 0000000052D8: D1D30317 045EC761
	v_max3_f32 v22, |v100|, |v102|, v22                        // 0000000052E0: D1D30316 045ACD64
	v_max3_f32 v23, |v101|, |v103|, v23                        // 0000000052E8: D1D30317 045ECF65
	v_max3_f32 v22, |v104|, |v106|, v22                        // 0000000052F0: D1D30316 045AD568
	v_max3_f32 v23, |v105|, |v107|, v23                        // 0000000052F8: D1D30317 045ED769
	v_max3_f32 v22, |v108|, |v110|, v22                        // 000000005300: D1D30316 045ADD6C
	v_max3_f32 v23, |v109|, |v111|, v23                        // 000000005308: D1D30317 045EDF6D
	v_max3_f32 v22, |v112|, |v114|, v22                        // 000000005310: D1D30316 045AE570
	v_max3_f32 v23, |v113|, |v115|, v23                        // 000000005318: D1D30317 045EE771
	v_max3_f32 v22, |v116|, |v118|, v22                        // 000000005320: D1D30316 045AED74
	v_max3_f32 v23, |v117|, |v119|, v23                        // 000000005328: D1D30317 045EEF75
	v_max3_f32 v22, |v120|, |v122|, v22                        // 000000005330: D1D30316 045AF578
	v_max3_f32 v23, |v121|, |v123|, v23                        // 000000005338: D1D30317 045EF779
	v_max3_f32 v22, |v124|, |v126|, v22                        // 000000005340: D1D30316 045AFD7C
	v_max3_f32 v23, |v125|, |v127|, v23                        // 000000005348: D1D30317 045EFF7D
	v_rcp_f32_e32 v22, v22                                     // 000000005350: 7E2C4516
	v_rcp_f32_e32 v23, v23                                     // 000000005354: 7E2E4517
	v_mov_b32_e32 v50, 0x43700000                              // 000000005358: 7E6402FF 43700000
	v_mul_f32_e32 v22, v50, v22                                // 000000005360: 0A2C2D32
	v_mul_f32_e32 v23, v50, v23                                // 000000005364: 0A2E2F32
	v_mul_f32_e32 v128, v22, v128                              // 000000005368: 0B010116
	v_mul_f32_e32 v129, v22, v129                              // 00000000536C: 0B030316
	v_mul_f32_e32 v130, v22, v130                              // 000000005370: 0B050516
	v_mul_f32_e32 v131, v22, v131                              // 000000005374: 0B070716
	v_cvt_pk_fp8_f32 v128, v128, v129                          // 000000005378: D2A20080 00030380
	v_cvt_pk_fp8_f32 v128, v130, v131 op_sel:[0,0,1]           // 000000005380: D2A24080 00030782
	v_mul_f32_e32 v132, v23, v132                              // 000000005388: 0B090917
	v_mul_f32_e32 v133, v23, v133                              // 00000000538C: 0B0B0B17
	v_mul_f32_e32 v134, v23, v134                              // 000000005390: 0B0D0D17
	v_mul_f32_e32 v135, v23, v135                              // 000000005394: 0B0F0F17
	v_cvt_pk_fp8_f32 v129, v132, v133                          // 000000005398: D2A20081 00030B84
	v_cvt_pk_fp8_f32 v129, v134, v135 op_sel:[0,0,1]           // 0000000053A0: D2A24081 00030F86
	v_mul_f32_e32 v136, v22, v136                              // 0000000053A8: 0B111116
	v_mul_f32_e32 v137, v22, v137                              // 0000000053AC: 0B131316
	v_mul_f32_e32 v138, v22, v138                              // 0000000053B0: 0B151516
	v_mul_f32_e32 v139, v22, v139                              // 0000000053B4: 0B171716
	v_cvt_pk_fp8_f32 v130, v136, v137                          // 0000000053B8: D2A20082 00031388
	v_cvt_pk_fp8_f32 v130, v138, v139 op_sel:[0,0,1]           // 0000000053C0: D2A24082 0003178A
	v_mul_f32_e32 v140, v23, v140                              // 0000000053C8: 0B191917
	v_mul_f32_e32 v141, v23, v141                              // 0000000053CC: 0B1B1B17
	v_mul_f32_e32 v142, v23, v142                              // 0000000053D0: 0B1D1D17
	v_mul_f32_e32 v143, v23, v143                              // 0000000053D4: 0B1F1F17
	v_cvt_pk_fp8_f32 v131, v140, v141                          // 0000000053D8: D2A20083 00031B8C
	v_cvt_pk_fp8_f32 v131, v142, v143 op_sel:[0,0,1]           // 0000000053E0: D2A24083 00031F8E
	v_mul_f32_e32 v144, v22, v144                              // 0000000053E8: 0B212116
	v_mul_f32_e32 v145, v22, v145                              // 0000000053EC: 0B232316
	v_mul_f32_e32 v146, v22, v146                              // 0000000053F0: 0B252516
	v_mul_f32_e32 v147, v22, v147                              // 0000000053F4: 0B272716
	v_cvt_pk_fp8_f32 v132, v144, v145                          // 0000000053F8: D2A20084 00032390
	v_cvt_pk_fp8_f32 v132, v146, v147 op_sel:[0,0,1]           // 000000005400: D2A24084 00032792
	v_mul_f32_e32 v148, v23, v148                              // 000000005408: 0B292917
	v_mul_f32_e32 v149, v23, v149                              // 00000000540C: 0B2B2B17
	v_mul_f32_e32 v150, v23, v150                              // 000000005410: 0B2D2D17
	v_mul_f32_e32 v151, v23, v151                              // 000000005414: 0B2F2F17
	v_cvt_pk_fp8_f32 v133, v148, v149                          // 000000005418: D2A20085 00032B94
	v_cvt_pk_fp8_f32 v133, v150, v151 op_sel:[0,0,1]           // 000000005420: D2A24085 00032F96
	v_mul_f32_e32 v152, v22, v152                              // 000000005428: 0B313116
	v_mul_f32_e32 v153, v22, v153                              // 00000000542C: 0B333316
	v_mul_f32_e32 v154, v22, v154                              // 000000005430: 0B353516
	v_mul_f32_e32 v155, v22, v155                              // 000000005434: 0B373716
	v_cvt_pk_fp8_f32 v134, v152, v153                          // 000000005438: D2A20086 00033398
	v_cvt_pk_fp8_f32 v134, v154, v155 op_sel:[0,0,1]           // 000000005440: D2A24086 0003379A
	v_mul_f32_e32 v156, v23, v156                              // 000000005448: 0B393917
	v_mul_f32_e32 v157, v23, v157                              // 00000000544C: 0B3B3B17
	v_mul_f32_e32 v158, v23, v158                              // 000000005450: 0B3D3D17
	v_mul_f32_e32 v159, v23, v159                              // 000000005454: 0B3F3F17
	v_cvt_pk_fp8_f32 v135, v156, v157                          // 000000005458: D2A20087 00033B9C
	v_cvt_pk_fp8_f32 v135, v158, v159 op_sel:[0,0,1]           // 000000005460: D2A24087 00033F9E
	v_mul_f32_e32 v160, v22, v160                              // 000000005468: 0B414116
	v_mul_f32_e32 v161, v22, v161                              // 00000000546C: 0B434316
	v_mul_f32_e32 v162, v22, v162                              // 000000005470: 0B454516
	v_mul_f32_e32 v163, v22, v163                              // 000000005474: 0B474716
	v_cvt_pk_fp8_f32 v136, v160, v161                          // 000000005478: D2A20088 000343A0
	v_cvt_pk_fp8_f32 v136, v162, v163 op_sel:[0,0,1]           // 000000005480: D2A24088 000347A2
	v_mul_f32_e32 v164, v23, v164                              // 000000005488: 0B494917
	v_mul_f32_e32 v165, v23, v165                              // 00000000548C: 0B4B4B17
	v_mul_f32_e32 v166, v23, v166                              // 000000005490: 0B4D4D17
	v_mul_f32_e32 v167, v23, v167                              // 000000005494: 0B4F4F17
	v_cvt_pk_fp8_f32 v137, v164, v165                          // 000000005498: D2A20089 00034BA4
	v_cvt_pk_fp8_f32 v137, v166, v167 op_sel:[0,0,1]           // 0000000054A0: D2A24089 00034FA6
	v_rcp_f32_e32 v24, v22                                     // 0000000054A8: 7E304516
	v_rcp_f32_e32 v25, v23                                     // 0000000054AC: 7E324517
	v_lshrrev_b32_e32 v50, 5, v0                               // 0000000054B0: 20640085
	v_lshlrev_b32_e32 v51, 5, v50                              // 0000000054B4: 24666485
	v_and_b32_e32 v50, 31, v0                                  // 0000000054B8: 2664009F
	v_lshrrev_b32_e32 v52, 4, v50                              // 0000000054BC: 20686484
	v_add_u32_e32 v51, v52, v51                                // 0000000054C0: 68666734
	v_and_b32_e32 v50, 15, v0                                  // 0000000054C4: 2664008F
	v_lshlrev_b32_e32 v50, 1, v50                              // 0000000054C8: 24646481
	v_add_u32_e32 v51, v50, v51                                // 0000000054CC: 68666732
	v_lshlrev_b32_e32 v50, 2, v51                              // 0000000054D0: 24646682
	s_mul_i32 s60, 0x100, s7                                   // 0000000054D4: 923C07FF 00000100
	v_add_u32_e64 v50, v50, s60                                // 0000000054DC: D1340032 00007932
	ds_write_b32 v50, v128 offset:18688                        // 0000000054E4: D81A4900 00008032
	ds_write_b32 v50, v129 offset:23808                        // 0000000054EC: D81A5D00 00008132
	ds_write_b32 v50, v130 offset:19712                        // 0000000054F4: D81A4D00 00008232
	ds_write_b32 v50, v131 offset:24832                        // 0000000054FC: D81A6100 00008332
	ds_write_b32 v50, v132 offset:20736                        // 000000005504: D81A5100 00008432
	ds_write_b32 v50, v133 offset:25856                        // 00000000550C: D81A6500 00008532
	ds_write_b32 v50, v134 offset:21760                        // 000000005514: D81A5500 00008632
	ds_write_b32 v50, v135 offset:26880                        // 00000000551C: D81A6900 00008732
	ds_write_b32 v50, v136 offset:22784                        // 000000005524: D81A5900 00008832
	ds_write_b32 v50, v137 offset:27904                        // 00000000552C: D81A6D00 00008932
	s_waitcnt lgkmcnt(0)                                       // 000000005534: BF8CC07F
	s_barrier                                                  // 000000005538: BF8A0000
	v_lshrrev_b32_e32 v50, 4, v0                               // 00000000553C: 20640084
	v_lshlrev_b32_e32 v51, 6, v50                              // 000000005540: 24666486
	v_and_b32_e32 v50, 15, v0                                  // 000000005544: 2664008F
	v_lshlrev_b32_e32 v50, 1, v50                              // 000000005548: 24646481
	v_add_u32_e32 v51, v50, v51                                // 00000000554C: 68666732
	v_lshlrev_b32_e32 v50, 2, v51                              // 000000005550: 24646682
	ds_read_b64 v[128:129], v50 offset:18688                   // 000000005554: D8EC4900 80000032
	ds_read_b64 v[130:131], v50 offset:18816                   // 00000000555C: D8EC4980 82000032
	ds_read_b64 v[132:133], v50 offset:19712                   // 000000005564: D8EC4D00 84000032
	ds_read_b64 v[134:135], v50 offset:19840                   // 00000000556C: D8EC4D80 86000032
	ds_read_b64 v[136:137], v50 offset:20736                   // 000000005574: D8EC5100 88000032
	ds_read_b64 v[138:139], v50 offset:20864                   // 00000000557C: D8EC5180 8A000032
	ds_read_b64 v[140:141], v50 offset:21760                   // 000000005584: D8EC5500 8C000032
	ds_read_b64 v[142:143], v50 offset:21888                   // 00000000558C: D8EC5580 8E000032
	ds_read_b64 v[144:145], v50 offset:22784                   // 000000005594: D8EC5900 90000032
	ds_read_b64 v[146:147], v50 offset:22912                   // 00000000559C: D8EC5980 92000032
	ds_read_b64 v[148:149], v50 offset:23808                   // 0000000055A4: D8EC5D00 94000032
	ds_read_b64 v[150:151], v50 offset:23936                   // 0000000055AC: D8EC5D80 96000032
	ds_read_b64 v[152:153], v50 offset:24832                   // 0000000055B4: D8EC6100 98000032
	ds_read_b64 v[154:155], v50 offset:24960                   // 0000000055BC: D8EC6180 9A000032
	ds_read_b64 v[156:157], v50 offset:25856                   // 0000000055C4: D8EC6500 9C000032
	ds_read_b64 v[158:159], v50 offset:25984                   // 0000000055CC: D8EC6580 9E000032
	ds_read_b64 v[160:161], v50 offset:26880                   // 0000000055D4: D8EC6900 A0000032
	ds_read_b64 v[162:163], v50 offset:27008                   // 0000000055DC: D8EC6980 A2000032
	ds_read_b64 v[164:165], v50 offset:27904                   // 0000000055E4: D8EC6D00 A4000032
	ds_read_b64 v[166:167], v50 offset:28032                   // 0000000055EC: D8EC6D80 A6000032
	s_add_u32 s12, s56, s12                                    // 0000000055F4: 800C0C38
	s_addc_u32 s13, 0, s13                                     // 0000000055F8: 820D0D80
	s_add_u32 s16, s79, s16                                    // 0000000055FC: 8010104F
	s_addc_u32 s17, 0, s17                                     // 000000005600: 82111180
	s_mov_b32 s80, 0                                           // 000000005604: BED00080
	s_waitcnt vmcnt(0) expcnt(0) lgkmcnt(0)                    // 000000005608: BF8C0000

000000000000560c <label_0AC3>:
	s_waitcnt vmcnt(33)                                        // 00000000560C: BF8C8F71
	s_barrier                                                  // 000000005610: BF8A0000
	v_mfma_f32_16x16x32_fp8_fp8 v[168:171], a[0:1], v[128:129], 0// 000000005614: D3F300A8 0A030100
	v_mfma_f32_16x16x32_fp8_fp8 v[168:171], a[2:3], v[130:131], v[168:171]// 00000000561C: D3F300A8 0EA30502
	buffer_load_dwordx4 a[80:83], v39, s[12:15], 0 offen       // 000000005624: E05C1000 80835027
	v_mfma_f32_16x16x32_fp8_fp8 v[172:175], a[0:1], v[148:149], 0// 00000000562C: D3F300AC 0A032900
	v_mfma_f32_16x16x32_fp8_fp8 v[172:175], a[2:3], v[150:151], v[172:175]// 000000005634: D3F300AC 0EB32D02
	v_mfma_f32_16x16x32_fp8_fp8 v[176:179], a[4:5], v[128:129], 0// 00000000563C: D3F300B0 0A030104
	v_mfma_f32_16x16x32_fp8_fp8 v[176:179], a[6:7], v[130:131], v[176:179]// 000000005644: D3F300B0 0EC30506
	buffer_load_dwordx4 a[84:87], v40, s[12:15], 0 offen       // 00000000564C: E05C1000 80835428
	v_mfma_f32_16x16x32_fp8_fp8 v[180:183], a[4:5], v[148:149], 0// 000000005654: D3F300B4 0A032904
	v_mfma_f32_16x16x32_fp8_fp8 v[180:183], a[6:7], v[150:151], v[180:183]// 00000000565C: D3F300B4 0ED32D06
	v_mfma_f32_16x16x32_fp8_fp8 v[184:187], a[8:9], v[128:129], 0// 000000005664: D3F300B8 0A030108
	v_mfma_f32_16x16x32_fp8_fp8 v[184:187], a[10:11], v[130:131], v[184:187]// 00000000566C: D3F300B8 0EE3050A
	buffer_load_dwordx4 a[88:91], v41, s[12:15], 0 offen       // 000000005674: E05C1000 80835829
	v_mfma_f32_16x16x32_fp8_fp8 v[188:191], a[8:9], v[148:149], 0// 00000000567C: D3F300BC 0A032908
	v_mfma_f32_16x16x32_fp8_fp8 v[188:191], a[10:11], v[150:151], v[188:191]// 000000005684: D3F300BC 0EF32D0A
	v_mfma_f32_16x16x32_fp8_fp8 v[192:195], a[12:13], v[128:129], 0// 00000000568C: D3F300C0 0A03010C
	v_mfma_f32_16x16x32_fp8_fp8 v[192:195], a[14:15], v[130:131], v[192:195]// 000000005694: D3F300C0 0F03050E
	buffer_load_dwordx4 a[92:95], v42, s[12:15], 0 offen       // 00000000569C: E05C1000 80835C2A
	s_add_u32 s12, s78, s12                                    // 0000000056A4: 800C0C4E
	s_addc_u32 s13, 0, s13                                     // 0000000056A8: 820D0D80
	v_mfma_f32_16x16x32_fp8_fp8 v[196:199], a[12:13], v[148:149], 0// 0000000056AC: D3F300C4 0A03290C
	v_mfma_f32_16x16x32_fp8_fp8 v[196:199], a[14:15], v[150:151], v[196:199]// 0000000056B4: D3F300C4 0F132D0E
	s_waitcnt vmcnt(33)                                        // 0000000056BC: BF8C8F71
	v_mfma_f32_16x16x32_fp8_fp8 v[168:171], a[16:17], v[132:133], v[168:171]// 0000000056C0: D3F300A8 0EA30910
	v_mfma_f32_16x16x32_fp8_fp8 v[168:171], a[18:19], v[134:135], v[168:171]// 0000000056C8: D3F300A8 0EA30D12
	buffer_load_dwordx4 a[96:99], v39, s[12:15], 0 offen       // 0000000056D0: E05C1000 80836027
	v_mfma_f32_16x16x32_fp8_fp8 v[172:175], a[16:17], v[152:153], v[172:175]// 0000000056D8: D3F300AC 0EB33110
	v_mfma_f32_16x16x32_fp8_fp8 v[172:175], a[18:19], v[154:155], v[172:175]// 0000000056E0: D3F300AC 0EB33512
	v_mfma_f32_16x16x32_fp8_fp8 v[176:179], a[20:21], v[132:133], v[176:179]// 0000000056E8: D3F300B0 0EC30914
	v_mfma_f32_16x16x32_fp8_fp8 v[176:179], a[22:23], v[134:135], v[176:179]// 0000000056F0: D3F300B0 0EC30D16
	buffer_load_dwordx4 a[100:103], v40, s[12:15], 0 offen     // 0000000056F8: E05C1000 80836428
	v_mfma_f32_16x16x32_fp8_fp8 v[180:183], a[20:21], v[152:153], v[180:183]// 000000005700: D3F300B4 0ED33114
	v_mfma_f32_16x16x32_fp8_fp8 v[180:183], a[22:23], v[154:155], v[180:183]// 000000005708: D3F300B4 0ED33516
	v_mfma_f32_16x16x32_fp8_fp8 v[184:187], a[24:25], v[132:133], v[184:187]// 000000005710: D3F300B8 0EE30918
	v_mfma_f32_16x16x32_fp8_fp8 v[184:187], a[26:27], v[134:135], v[184:187]// 000000005718: D3F300B8 0EE30D1A
	buffer_load_dwordx4 a[104:107], v41, s[12:15], 0 offen     // 000000005720: E05C1000 80836829
	v_mfma_f32_16x16x32_fp8_fp8 v[188:191], a[24:25], v[152:153], v[188:191]// 000000005728: D3F300BC 0EF33118
	v_mfma_f32_16x16x32_fp8_fp8 v[188:191], a[26:27], v[154:155], v[188:191]// 000000005730: D3F300BC 0EF3351A
	v_mfma_f32_16x16x32_fp8_fp8 v[192:195], a[28:29], v[132:133], v[192:195]// 000000005738: D3F300C0 0F03091C
	v_mfma_f32_16x16x32_fp8_fp8 v[192:195], a[30:31], v[134:135], v[192:195]// 000000005740: D3F300C0 0F030D1E
	buffer_load_dwordx4 a[108:111], v42, s[12:15], 0 offen     // 000000005748: E05C1000 80836C2A
	s_add_u32 s12, s78, s12                                    // 000000005750: 800C0C4E
	s_addc_u32 s13, 0, s13                                     // 000000005754: 820D0D80
	v_mfma_f32_16x16x32_fp8_fp8 v[196:199], a[28:29], v[152:153], v[196:199]// 000000005758: D3F300C4 0F13311C
	v_mfma_f32_16x16x32_fp8_fp8 v[196:199], a[30:31], v[154:155], v[196:199]// 000000005760: D3F300C4 0F13351E
	s_waitcnt vmcnt(33)                                        // 000000005768: BF8C8F71
	v_mfma_f32_16x16x32_fp8_fp8 v[168:171], a[32:33], v[136:137], v[168:171]// 00000000576C: D3F300A8 0EA31120
	v_mfma_f32_16x16x32_fp8_fp8 v[168:171], a[34:35], v[138:139], v[168:171]// 000000005774: D3F300A8 0EA31522
	buffer_load_dwordx4 a[112:115], v39, s[12:15], 0 offen     // 00000000577C: E05C1000 80837027
	v_mfma_f32_16x16x32_fp8_fp8 v[172:175], a[32:33], v[156:157], v[172:175]// 000000005784: D3F300AC 0EB33920
	v_mfma_f32_16x16x32_fp8_fp8 v[172:175], a[34:35], v[158:159], v[172:175]// 00000000578C: D3F300AC 0EB33D22
	v_mfma_f32_16x16x32_fp8_fp8 v[176:179], a[36:37], v[136:137], v[176:179]// 000000005794: D3F300B0 0EC31124
	v_mfma_f32_16x16x32_fp8_fp8 v[176:179], a[38:39], v[138:139], v[176:179]// 00000000579C: D3F300B0 0EC31526
	buffer_load_dwordx4 a[116:119], v40, s[12:15], 0 offen     // 0000000057A4: E05C1000 80837428
	v_mfma_f32_16x16x32_fp8_fp8 v[180:183], a[36:37], v[156:157], v[180:183]// 0000000057AC: D3F300B4 0ED33924
	v_mfma_f32_16x16x32_fp8_fp8 v[180:183], a[38:39], v[158:159], v[180:183]// 0000000057B4: D3F300B4 0ED33D26
	v_mfma_f32_16x16x32_fp8_fp8 v[184:187], a[40:41], v[136:137], v[184:187]// 0000000057BC: D3F300B8 0EE31128
	v_mfma_f32_16x16x32_fp8_fp8 v[184:187], a[42:43], v[138:139], v[184:187]// 0000000057C4: D3F300B8 0EE3152A
	buffer_load_dwordx4 a[120:123], v41, s[12:15], 0 offen     // 0000000057CC: E05C1000 80837829
	v_mfma_f32_16x16x32_fp8_fp8 v[188:191], a[40:41], v[156:157], v[188:191]// 0000000057D4: D3F300BC 0EF33928
	v_mfma_f32_16x16x32_fp8_fp8 v[188:191], a[42:43], v[158:159], v[188:191]// 0000000057DC: D3F300BC 0EF33D2A
	v_mfma_f32_16x16x32_fp8_fp8 v[192:195], a[44:45], v[136:137], v[192:195]// 0000000057E4: D3F300C0 0F03112C
	v_mfma_f32_16x16x32_fp8_fp8 v[192:195], a[46:47], v[138:139], v[192:195]// 0000000057EC: D3F300C0 0F03152E
	buffer_load_dwordx4 a[124:127], v42, s[12:15], 0 offen     // 0000000057F4: E05C1000 80837C2A
	s_add_u32 s12, s78, s12                                    // 0000000057FC: 800C0C4E
	s_addc_u32 s13, 0, s13                                     // 000000005800: 820D0D80
	v_mfma_f32_16x16x32_fp8_fp8 v[196:199], a[44:45], v[156:157], v[196:199]// 000000005804: D3F300C4 0F13392C
	v_mfma_f32_16x16x32_fp8_fp8 v[196:199], a[46:47], v[158:159], v[196:199]// 00000000580C: D3F300C4 0F133D2E
	s_waitcnt vmcnt(33)                                        // 000000005814: BF8C8F71
	v_mfma_f32_16x16x32_fp8_fp8 v[168:171], a[48:49], v[140:141], v[168:171]// 000000005818: D3F300A8 0EA31930
	v_mfma_f32_16x16x32_fp8_fp8 v[168:171], a[50:51], v[142:143], v[168:171]// 000000005820: D3F300A8 0EA31D32
	buffer_load_dwordx4 a[128:131], v39, s[12:15], 0 offen     // 000000005828: E05C1000 80838027
	v_mfma_f32_16x16x32_fp8_fp8 v[172:175], a[48:49], v[160:161], v[172:175]// 000000005830: D3F300AC 0EB34130
	v_mfma_f32_16x16x32_fp8_fp8 v[172:175], a[50:51], v[162:163], v[172:175]// 000000005838: D3F300AC 0EB34532
	v_mfma_f32_16x16x32_fp8_fp8 v[176:179], a[52:53], v[140:141], v[176:179]// 000000005840: D3F300B0 0EC31934
	v_mfma_f32_16x16x32_fp8_fp8 v[176:179], a[54:55], v[142:143], v[176:179]// 000000005848: D3F300B0 0EC31D36
	buffer_load_dwordx4 a[132:135], v40, s[12:15], 0 offen     // 000000005850: E05C1000 80838428
	v_mfma_f32_16x16x32_fp8_fp8 v[180:183], a[52:53], v[160:161], v[180:183]// 000000005858: D3F300B4 0ED34134
	v_mfma_f32_16x16x32_fp8_fp8 v[180:183], a[54:55], v[162:163], v[180:183]// 000000005860: D3F300B4 0ED34536
	v_mfma_f32_16x16x32_fp8_fp8 v[184:187], a[56:57], v[140:141], v[184:187]// 000000005868: D3F300B8 0EE31938
	v_mfma_f32_16x16x32_fp8_fp8 v[184:187], a[58:59], v[142:143], v[184:187]// 000000005870: D3F300B8 0EE31D3A
	buffer_load_dwordx4 a[136:139], v41, s[12:15], 0 offen     // 000000005878: E05C1000 80838829
	v_mfma_f32_16x16x32_fp8_fp8 v[188:191], a[56:57], v[160:161], v[188:191]// 000000005880: D3F300BC 0EF34138
	v_mfma_f32_16x16x32_fp8_fp8 v[188:191], a[58:59], v[162:163], v[188:191]// 000000005888: D3F300BC 0EF3453A
	v_mfma_f32_16x16x32_fp8_fp8 v[192:195], a[60:61], v[140:141], v[192:195]// 000000005890: D3F300C0 0F03193C
	v_mfma_f32_16x16x32_fp8_fp8 v[192:195], a[62:63], v[142:143], v[192:195]// 000000005898: D3F300C0 0F031D3E
	buffer_load_dwordx4 a[140:143], v42, s[12:15], 0 offen     // 0000000058A0: E05C1000 80838C2A
	s_add_u32 s12, s78, s12                                    // 0000000058A8: 800C0C4E
	s_addc_u32 s13, 0, s13                                     // 0000000058AC: 820D0D80
	v_mfma_f32_16x16x32_fp8_fp8 v[196:199], a[60:61], v[160:161], v[196:199]// 0000000058B0: D3F300C4 0F13413C
	v_mfma_f32_16x16x32_fp8_fp8 v[196:199], a[62:63], v[162:163], v[196:199]// 0000000058B8: D3F300C4 0F13453E
	s_waitcnt vmcnt(32)                                        // 0000000058C0: BF8C8F70
	v_mfma_f32_16x16x32_fp8_fp8 v[168:171], a[64:65], v[144:145], v[168:171]// 0000000058C4: D3F300A8 0EA32140
	v_mfma_f32_16x16x32_fp8_fp8 v[168:171], a[66:67], v[146:147], v[168:171]// 0000000058CC: D3F300A8 0EA32542
	buffer_load_dwordx4 a[144:147], v39, s[12:15], 0 offen     // 0000000058D4: E05C1000 80839027
	v_mfma_f32_16x16x32_fp8_fp8 v[172:175], a[64:65], v[164:165], v[172:175]// 0000000058DC: D3F300AC 0EB34940
	v_mfma_f32_16x16x32_fp8_fp8 v[172:175], a[66:67], v[166:167], v[172:175]// 0000000058E4: D3F300AC 0EB34D42
	buffer_load_dword v13, v5, s[16:19], 0 offen               // 0000000058EC: E0501000 80040D05
	v_mfma_f32_16x16x32_fp8_fp8 v[176:179], a[68:69], v[144:145], v[176:179]// 0000000058F4: D3F300B0 0EC32144
	v_mfma_f32_16x16x32_fp8_fp8 v[176:179], a[70:71], v[146:147], v[176:179]// 0000000058FC: D3F300B0 0EC32546
	buffer_load_dwordx4 a[148:151], v40, s[12:15], 0 offen     // 000000005904: E05C1000 80839428
	v_mfma_f32_16x16x32_fp8_fp8 v[180:183], a[68:69], v[164:165], v[180:183]// 00000000590C: D3F300B4 0ED34944
	v_mfma_f32_16x16x32_fp8_fp8 v[180:183], a[70:71], v[166:167], v[180:183]// 000000005914: D3F300B4 0ED34D46
	v_mfma_f32_16x16x32_fp8_fp8 v[184:187], a[72:73], v[144:145], v[184:187]// 00000000591C: D3F300B8 0EE32148
	v_mfma_f32_16x16x32_fp8_fp8 v[184:187], a[74:75], v[146:147], v[184:187]// 000000005924: D3F300B8 0EE3254A
	buffer_load_dwordx4 a[152:155], v41, s[12:15], 0 offen     // 00000000592C: E05C1000 80839829
	v_mfma_f32_16x16x32_fp8_fp8 v[188:191], a[72:73], v[164:165], v[188:191]// 000000005934: D3F300BC 0EF34948
	v_mfma_f32_16x16x32_fp8_fp8 v[188:191], a[74:75], v[166:167], v[188:191]// 00000000593C: D3F300BC 0EF34D4A
	v_mfma_f32_16x16x32_fp8_fp8 v[192:195], a[76:77], v[144:145], v[192:195]// 000000005944: D3F300C0 0F03214C
	v_mfma_f32_16x16x32_fp8_fp8 v[192:195], a[78:79], v[146:147], v[192:195]// 00000000594C: D3F300C0 0F03254E
	buffer_load_dwordx4 a[156:159], v42, s[12:15], 0 offen     // 000000005954: E05C1000 80839C2A
	v_mfma_f32_16x16x32_fp8_fp8 v[196:199], a[76:77], v[164:165], v[196:199]// 00000000595C: D3F300C4 0F13494C
	v_mfma_f32_16x16x32_fp8_fp8 v[196:199], a[78:79], v[166:167], v[196:199]// 000000005964: D3F300C4 0F134D4E
	s_add_u32 s60, 0x200, s80                                  // 00000000596C: 803C50FF 00000200
	s_cmp_lt_u32 s60, s81                                      // 000000005974: BF0A513C
	s_cselect_b32 s56, s56, 0                                  // 000000005978: 85388038
	s_cselect_b32 s78, s78, 0                                  // 00000000597C: 854E804E
	s_cselect_b32 s79, s79, 0                                  // 000000005980: 854F804F
	s_add_u32 s12, s56, s12                                    // 000000005984: 800C0C38
	s_addc_u32 s13, 0, s13                                     // 000000005988: 820D0D80
	s_add_u32 s16, s79, s16                                    // 00000000598C: 8010104F
	s_addc_u32 s17, 0, s17                                     // 000000005990: 82111180
	v_mul_f32_e32 v168, v24, v168                              // 000000005994: 0B515118
	v_mul_f32_e32 v169, v24, v169                              // 000000005998: 0B535318
	v_mul_f32_e32 v170, v24, v170                              // 00000000599C: 0B555518
	v_mul_f32_e32 v171, v24, v171                              // 0000000059A0: 0B575718
	v_mul_f32_dpp v168, v12, v168 row_newbcast:0 row_mask:0xf bank_mask:0xf// 0000000059A4: 0B5150FA FF01500C
	v_mul_f32_dpp v169, v12, v169 row_newbcast:1 row_mask:0xf bank_mask:0xf// 0000000059AC: 0B5352FA FF01510C
	v_mul_f32_dpp v170, v12, v170 row_newbcast:2 row_mask:0xf bank_mask:0xf// 0000000059B4: 0B5554FA FF01520C
	v_mul_f32_dpp v171, v12, v171 row_newbcast:3 row_mask:0xf bank_mask:0xf// 0000000059BC: 0B5756FA FF01530C
	v_mul_f32_e32 v172, v25, v172                              // 0000000059C4: 0B595919
	v_mul_f32_e32 v173, v25, v173                              // 0000000059C8: 0B5B5B19
	v_mul_f32_e32 v174, v25, v174                              // 0000000059CC: 0B5D5D19
	v_mul_f32_e32 v175, v25, v175                              // 0000000059D0: 0B5F5F19
	v_mul_f32_dpp v172, v12, v172 row_newbcast:0 row_mask:0xf bank_mask:0xf// 0000000059D4: 0B5958FA FF01500C
	v_mul_f32_dpp v173, v12, v173 row_newbcast:1 row_mask:0xf bank_mask:0xf// 0000000059DC: 0B5B5AFA FF01510C
	v_mul_f32_dpp v174, v12, v174 row_newbcast:2 row_mask:0xf bank_mask:0xf// 0000000059E4: 0B5D5CFA FF01520C
	v_mul_f32_dpp v175, v12, v175 row_newbcast:3 row_mask:0xf bank_mask:0xf// 0000000059EC: 0B5F5EFA FF01530C
	v_mul_f32_e32 v176, v24, v176                              // 0000000059F4: 0B616118
	v_mul_f32_e32 v177, v24, v177                              // 0000000059F8: 0B636318
	v_mul_f32_e32 v178, v24, v178                              // 0000000059FC: 0B656518
	v_mul_f32_e32 v179, v24, v179                              // 000000005A00: 0B676718
	v_mul_f32_dpp v176, v12, v176 row_newbcast:4 row_mask:0xf bank_mask:0xf// 000000005A04: 0B6160FA FF01540C
	v_mul_f32_dpp v177, v12, v177 row_newbcast:5 row_mask:0xf bank_mask:0xf// 000000005A0C: 0B6362FA FF01550C
	v_mul_f32_dpp v178, v12, v178 row_newbcast:6 row_mask:0xf bank_mask:0xf// 000000005A14: 0B6564FA FF01560C
	v_mul_f32_dpp v179, v12, v179 row_newbcast:7 row_mask:0xf bank_mask:0xf// 000000005A1C: 0B6766FA FF01570C
	v_mul_f32_e32 v180, v25, v180                              // 000000005A24: 0B696919
	v_mul_f32_e32 v181, v25, v181                              // 000000005A28: 0B6B6B19
	v_mul_f32_e32 v182, v25, v182                              // 000000005A2C: 0B6D6D19
	v_mul_f32_e32 v183, v25, v183                              // 000000005A30: 0B6F6F19
	v_mul_f32_dpp v180, v12, v180 row_newbcast:4 row_mask:0xf bank_mask:0xf// 000000005A34: 0B6968FA FF01540C
	v_mul_f32_dpp v181, v12, v181 row_newbcast:5 row_mask:0xf bank_mask:0xf// 000000005A3C: 0B6B6AFA FF01550C
	v_mul_f32_dpp v182, v12, v182 row_newbcast:6 row_mask:0xf bank_mask:0xf// 000000005A44: 0B6D6CFA FF01560C
	v_mul_f32_dpp v183, v12, v183 row_newbcast:7 row_mask:0xf bank_mask:0xf// 000000005A4C: 0B6F6EFA FF01570C
	v_mul_f32_e32 v184, v24, v184                              // 000000005A54: 0B717118
	v_mul_f32_e32 v185, v24, v185                              // 000000005A58: 0B737318
	v_mul_f32_e32 v186, v24, v186                              // 000000005A5C: 0B757518
	v_mul_f32_e32 v187, v24, v187                              // 000000005A60: 0B777718
	v_mul_f32_dpp v184, v12, v184 row_newbcast:8 row_mask:0xf bank_mask:0xf// 000000005A64: 0B7170FA FF01580C
	v_mul_f32_dpp v185, v12, v185 row_newbcast:9 row_mask:0xf bank_mask:0xf// 000000005A6C: 0B7372FA FF01590C
	v_mul_f32_dpp v186, v12, v186 row_newbcast:10 row_mask:0xf bank_mask:0xf// 000000005A74: 0B7574FA FF015A0C
	v_mul_f32_dpp v187, v12, v187 row_newbcast:11 row_mask:0xf bank_mask:0xf// 000000005A7C: 0B7776FA FF015B0C
	v_mul_f32_e32 v188, v25, v188                              // 000000005A84: 0B797919
	v_mul_f32_e32 v189, v25, v189                              // 000000005A88: 0B7B7B19
	v_mul_f32_e32 v190, v25, v190                              // 000000005A8C: 0B7D7D19
	v_mul_f32_e32 v191, v25, v191                              // 000000005A90: 0B7F7F19
	v_mul_f32_dpp v188, v12, v188 row_newbcast:8 row_mask:0xf bank_mask:0xf// 000000005A94: 0B7978FA FF01580C
	v_mul_f32_dpp v189, v12, v189 row_newbcast:9 row_mask:0xf bank_mask:0xf// 000000005A9C: 0B7B7AFA FF01590C
	v_mul_f32_dpp v190, v12, v190 row_newbcast:10 row_mask:0xf bank_mask:0xf// 000000005AA4: 0B7D7CFA FF015A0C
	v_mul_f32_dpp v191, v12, v191 row_newbcast:11 row_mask:0xf bank_mask:0xf// 000000005AAC: 0B7F7EFA FF015B0C
	v_mul_f32_e32 v192, v24, v192                              // 000000005AB4: 0B818118
	v_mul_f32_e32 v193, v24, v193                              // 000000005AB8: 0B838318
	v_mul_f32_e32 v194, v24, v194                              // 000000005ABC: 0B858518
	v_mul_f32_e32 v195, v24, v195                              // 000000005AC0: 0B878718
	v_mul_f32_dpp v192, v12, v192 row_newbcast:12 row_mask:0xf bank_mask:0xf// 000000005AC4: 0B8180FA FF015C0C
	v_mul_f32_dpp v193, v12, v193 row_newbcast:13 row_mask:0xf bank_mask:0xf// 000000005ACC: 0B8382FA FF015D0C
	v_mul_f32_dpp v194, v12, v194 row_newbcast:14 row_mask:0xf bank_mask:0xf// 000000005AD4: 0B8584FA FF015E0C
	v_mul_f32_dpp v195, v12, v195 row_newbcast:15 row_mask:0xf bank_mask:0xf// 000000005ADC: 0B8786FA FF015F0C
	v_mul_f32_e32 v196, v25, v196                              // 000000005AE4: 0B898919
	v_mul_f32_e32 v197, v25, v197                              // 000000005AE8: 0B8B8B19
	v_mul_f32_e32 v198, v25, v198                              // 000000005AEC: 0B8D8D19
	v_mul_f32_e32 v199, v25, v199                              // 000000005AF0: 0B8F8F19
	v_mul_f32_dpp v196, v12, v196 row_newbcast:12 row_mask:0xf bank_mask:0xf// 000000005AF4: 0B8988FA FF015C0C
	v_mul_f32_dpp v197, v12, v197 row_newbcast:13 row_mask:0xf bank_mask:0xf// 000000005AFC: 0B8B8AFA FF015D0C
	v_mul_f32_dpp v198, v12, v198 row_newbcast:14 row_mask:0xf bank_mask:0xf// 000000005B04: 0B8D8CFA FF015E0C
	v_mul_f32_dpp v199, v12, v199 row_newbcast:15 row_mask:0xf bank_mask:0xf// 000000005B0C: 0B8F8EFA FF015F0C
	v_cmp_u_f32_e64 s[48:49], v168, v168                       // 000000005B14: D0480030 000351A8
	v_add3_u32 v43, v168, v46, 1                               // 000000005B1C: D1FF002B 02065DA8
	v_cndmask_b32_e64 v50, v43, v45, s[48:49]                  // 000000005B24: D1000032 00C25B2B
	v_cmp_u_f32_e64 s[48:49], v169, v169                       // 000000005B2C: D0480030 000353A9
	v_add3_u32 v43, v169, v46, 1                               // 000000005B34: D1FF002B 02065DA9
	v_cndmask_b32_e64 v51, v43, v45, s[48:49]                  // 000000005B3C: D1000033 00C25B2B
	v_perm_b32 v168, v51, v50, s52                             // 000000005B44: D1ED00A8 00D26533
	v_cmp_u_f32_e64 s[48:49], v170, v170                       // 000000005B4C: D0480030 000355AA
	v_add3_u32 v43, v170, v46, 1                               // 000000005B54: D1FF002B 02065DAA
	v_cndmask_b32_e64 v50, v43, v45, s[48:49]                  // 000000005B5C: D1000032 00C25B2B
	v_cmp_u_f32_e64 s[48:49], v171, v171                       // 000000005B64: D0480030 000357AB
	v_add3_u32 v43, v171, v46, 1                               // 000000005B6C: D1FF002B 02065DAB
	v_cndmask_b32_e64 v51, v43, v45, s[48:49]                  // 000000005B74: D1000033 00C25B2B
	v_perm_b32 v169, v51, v50, s52                             // 000000005B7C: D1ED00A9 00D26533
	v_cmp_u_f32_e64 s[48:49], v172, v172                       // 000000005B84: D0480030 000359AC
	v_add3_u32 v43, v172, v46, 1                               // 000000005B8C: D1FF002B 02065DAC
	v_cndmask_b32_e64 v50, v43, v45, s[48:49]                  // 000000005B94: D1000032 00C25B2B
	v_cmp_u_f32_e64 s[48:49], v173, v173                       // 000000005B9C: D0480030 00035BAD
	v_add3_u32 v43, v173, v46, 1                               // 000000005BA4: D1FF002B 02065DAD
	v_cndmask_b32_e64 v51, v43, v45, s[48:49]                  // 000000005BAC: D1000033 00C25B2B
	v_perm_b32 v170, v51, v50, s52                             // 000000005BB4: D1ED00AA 00D26533
	v_cmp_u_f32_e64 s[48:49], v174, v174                       // 000000005BBC: D0480030 00035DAE
	v_add3_u32 v43, v174, v46, 1                               // 000000005BC4: D1FF002B 02065DAE
	v_cndmask_b32_e64 v50, v43, v45, s[48:49]                  // 000000005BCC: D1000032 00C25B2B
	v_cmp_u_f32_e64 s[48:49], v175, v175                       // 000000005BD4: D0480030 00035FAF
	v_add3_u32 v43, v175, v46, 1                               // 000000005BDC: D1FF002B 02065DAF
	v_cndmask_b32_e64 v51, v43, v45, s[48:49]                  // 000000005BE4: D1000033 00C25B2B
	v_perm_b32 v171, v51, v50, s52                             // 000000005BEC: D1ED00AB 00D26533
	v_cmp_u_f32_e64 s[48:49], v176, v176                       // 000000005BF4: D0480030 000361B0
	v_add3_u32 v43, v176, v46, 1                               // 000000005BFC: D1FF002B 02065DB0
	v_cndmask_b32_e64 v50, v43, v45, s[48:49]                  // 000000005C04: D1000032 00C25B2B
	v_cmp_u_f32_e64 s[48:49], v177, v177                       // 000000005C0C: D0480030 000363B1
	v_add3_u32 v43, v177, v46, 1                               // 000000005C14: D1FF002B 02065DB1
	v_cndmask_b32_e64 v51, v43, v45, s[48:49]                  // 000000005C1C: D1000033 00C25B2B
	v_perm_b32 v172, v51, v50, s52                             // 000000005C24: D1ED00AC 00D26533
	v_cmp_u_f32_e64 s[48:49], v178, v178                       // 000000005C2C: D0480030 000365B2
	v_add3_u32 v43, v178, v46, 1                               // 000000005C34: D1FF002B 02065DB2
	v_cndmask_b32_e64 v50, v43, v45, s[48:49]                  // 000000005C3C: D1000032 00C25B2B
	v_cmp_u_f32_e64 s[48:49], v179, v179                       // 000000005C44: D0480030 000367B3
	v_add3_u32 v43, v179, v46, 1                               // 000000005C4C: D1FF002B 02065DB3
	v_cndmask_b32_e64 v51, v43, v45, s[48:49]                  // 000000005C54: D1000033 00C25B2B
	v_perm_b32 v173, v51, v50, s52                             // 000000005C5C: D1ED00AD 00D26533
	v_cmp_u_f32_e64 s[48:49], v180, v180                       // 000000005C64: D0480030 000369B4
	v_add3_u32 v43, v180, v46, 1                               // 000000005C6C: D1FF002B 02065DB4
	v_cndmask_b32_e64 v50, v43, v45, s[48:49]                  // 000000005C74: D1000032 00C25B2B
	v_cmp_u_f32_e64 s[48:49], v181, v181                       // 000000005C7C: D0480030 00036BB5
	v_add3_u32 v43, v181, v46, 1                               // 000000005C84: D1FF002B 02065DB5
	v_cndmask_b32_e64 v51, v43, v45, s[48:49]                  // 000000005C8C: D1000033 00C25B2B
	v_perm_b32 v174, v51, v50, s52                             // 000000005C94: D1ED00AE 00D26533
	v_cmp_u_f32_e64 s[48:49], v182, v182                       // 000000005C9C: D0480030 00036DB6
	v_add3_u32 v43, v182, v46, 1                               // 000000005CA4: D1FF002B 02065DB6
	v_cndmask_b32_e64 v50, v43, v45, s[48:49]                  // 000000005CAC: D1000032 00C25B2B
	v_cmp_u_f32_e64 s[48:49], v183, v183                       // 000000005CB4: D0480030 00036FB7
	v_add3_u32 v43, v183, v46, 1                               // 000000005CBC: D1FF002B 02065DB7
	v_cndmask_b32_e64 v51, v43, v45, s[48:49]                  // 000000005CC4: D1000033 00C25B2B
	v_perm_b32 v175, v51, v50, s52                             // 000000005CCC: D1ED00AF 00D26533
	v_cmp_u_f32_e64 s[48:49], v184, v184                       // 000000005CD4: D0480030 000371B8
	v_add3_u32 v43, v184, v46, 1                               // 000000005CDC: D1FF002B 02065DB8
	v_cndmask_b32_e64 v50, v43, v45, s[48:49]                  // 000000005CE4: D1000032 00C25B2B
	v_cmp_u_f32_e64 s[48:49], v185, v185                       // 000000005CEC: D0480030 000373B9
	v_add3_u32 v43, v185, v46, 1                               // 000000005CF4: D1FF002B 02065DB9
	v_cndmask_b32_e64 v51, v43, v45, s[48:49]                  // 000000005CFC: D1000033 00C25B2B
	v_perm_b32 v176, v51, v50, s52                             // 000000005D04: D1ED00B0 00D26533
	v_cmp_u_f32_e64 s[48:49], v186, v186                       // 000000005D0C: D0480030 000375BA
	v_add3_u32 v43, v186, v46, 1                               // 000000005D14: D1FF002B 02065DBA
	v_cndmask_b32_e64 v50, v43, v45, s[48:49]                  // 000000005D1C: D1000032 00C25B2B
	v_cmp_u_f32_e64 s[48:49], v187, v187                       // 000000005D24: D0480030 000377BB
	v_add3_u32 v43, v187, v46, 1                               // 000000005D2C: D1FF002B 02065DBB
	v_cndmask_b32_e64 v51, v43, v45, s[48:49]                  // 000000005D34: D1000033 00C25B2B
	v_perm_b32 v177, v51, v50, s52                             // 000000005D3C: D1ED00B1 00D26533
	v_cmp_u_f32_e64 s[48:49], v188, v188                       // 000000005D44: D0480030 000379BC
	v_add3_u32 v43, v188, v46, 1                               // 000000005D4C: D1FF002B 02065DBC
	v_cndmask_b32_e64 v50, v43, v45, s[48:49]                  // 000000005D54: D1000032 00C25B2B
	v_cmp_u_f32_e64 s[48:49], v189, v189                       // 000000005D5C: D0480030 00037BBD
	v_add3_u32 v43, v189, v46, 1                               // 000000005D64: D1FF002B 02065DBD
	v_cndmask_b32_e64 v51, v43, v45, s[48:49]                  // 000000005D6C: D1000033 00C25B2B
	v_perm_b32 v178, v51, v50, s52                             // 000000005D74: D1ED00B2 00D26533
	v_cmp_u_f32_e64 s[48:49], v190, v190                       // 000000005D7C: D0480030 00037DBE
	v_add3_u32 v43, v190, v46, 1                               // 000000005D84: D1FF002B 02065DBE
	v_cndmask_b32_e64 v50, v43, v45, s[48:49]                  // 000000005D8C: D1000032 00C25B2B
	v_cmp_u_f32_e64 s[48:49], v191, v191                       // 000000005D94: D0480030 00037FBF
	v_add3_u32 v43, v191, v46, 1                               // 000000005D9C: D1FF002B 02065DBF
	v_cndmask_b32_e64 v51, v43, v45, s[48:49]                  // 000000005DA4: D1000033 00C25B2B
	v_perm_b32 v179, v51, v50, s52                             // 000000005DAC: D1ED00B3 00D26533
	v_cmp_u_f32_e64 s[48:49], v192, v192                       // 000000005DB4: D0480030 000381C0
	v_add3_u32 v43, v192, v46, 1                               // 000000005DBC: D1FF002B 02065DC0
	v_cndmask_b32_e64 v50, v43, v45, s[48:49]                  // 000000005DC4: D1000032 00C25B2B
	v_cmp_u_f32_e64 s[48:49], v193, v193                       // 000000005DCC: D0480030 000383C1
	v_add3_u32 v43, v193, v46, 1                               // 000000005DD4: D1FF002B 02065DC1
	v_cndmask_b32_e64 v51, v43, v45, s[48:49]                  // 000000005DDC: D1000033 00C25B2B
	v_perm_b32 v180, v51, v50, s52                             // 000000005DE4: D1ED00B4 00D26533
	v_cmp_u_f32_e64 s[48:49], v194, v194                       // 000000005DEC: D0480030 000385C2
	v_add3_u32 v43, v194, v46, 1                               // 000000005DF4: D1FF002B 02065DC2
	v_cndmask_b32_e64 v50, v43, v45, s[48:49]                  // 000000005DFC: D1000032 00C25B2B
	v_cmp_u_f32_e64 s[48:49], v195, v195                       // 000000005E04: D0480030 000387C3
	v_add3_u32 v43, v195, v46, 1                               // 000000005E0C: D1FF002B 02065DC3
	v_cndmask_b32_e64 v51, v43, v45, s[48:49]                  // 000000005E14: D1000033 00C25B2B
	v_perm_b32 v181, v51, v50, s52                             // 000000005E1C: D1ED00B5 00D26533
	v_cmp_u_f32_e64 s[48:49], v196, v196                       // 000000005E24: D0480030 000389C4
	v_add3_u32 v43, v196, v46, 1                               // 000000005E2C: D1FF002B 02065DC4
	v_cndmask_b32_e64 v50, v43, v45, s[48:49]                  // 000000005E34: D1000032 00C25B2B
	v_cmp_u_f32_e64 s[48:49], v197, v197                       // 000000005E3C: D0480030 00038BC5
	v_add3_u32 v43, v197, v46, 1                               // 000000005E44: D1FF002B 02065DC5
	v_cndmask_b32_e64 v51, v43, v45, s[48:49]                  // 000000005E4C: D1000033 00C25B2B
	v_perm_b32 v182, v51, v50, s52                             // 000000005E54: D1ED00B6 00D26533
	v_cmp_u_f32_e64 s[48:49], v198, v198                       // 000000005E5C: D0480030 00038DC6
	v_add3_u32 v43, v198, v46, 1                               // 000000005E64: D1FF002B 02065DC6
	v_cndmask_b32_e64 v50, v43, v45, s[48:49]                  // 000000005E6C: D1000032 00C25B2B
	v_cmp_u_f32_e64 s[48:49], v199, v199                       // 000000005E74: D0480030 00038FC7
	v_add3_u32 v43, v199, v46, 1                               // 000000005E7C: D1FF002B 02065DC7
	v_cndmask_b32_e64 v51, v43, v45, s[48:49]                  // 000000005E84: D1000033 00C25B2B
	v_perm_b32 v183, v51, v50, s52                             // 000000005E8C: D1ED00B7 00D26533
	ds_write_b64 v3, v[168:169] offset:28928                   // 000000005E94: D89A7100 0000A803
	ds_write_b64 v3, v[170:171] offset:37632                   // 000000005E9C: D89A9300 0000AA03
	ds_write_b64 v3, v[172:173] offset:31104                   // 000000005EA4: D89A7980 0000AC03
	ds_write_b64 v3, v[174:175] offset:39808                   // 000000005EAC: D89A9B80 0000AE03
	ds_write_b64 v3, v[176:177] offset:33280                   // 000000005EB4: D89A8200 0000B003
	ds_write_b64 v3, v[178:179] offset:41984                   // 000000005EBC: D89AA400 0000B203
	ds_write_b64 v3, v[180:181] offset:35456                   // 000000005EC4: D89A8A80 0000B403
	ds_write_b64 v3, v[182:183] offset:44160                   // 000000005ECC: D89AAC80 0000B603
	s_waitcnt lgkmcnt(0)                                       // 000000005ED4: BF8CC07F
	s_barrier                                                  // 000000005ED8: BF8A0000
	ds_read_b32 v64, v4 offset:28928                           // 000000005EDC: D86C7100 40000004
	ds_read_b32 v65, v4 offset:33280                           // 000000005EE4: D86C8200 41000004
	ds_read_b32 v66, v4 offset:28960                           // 000000005EEC: D86C7120 42000004
	ds_read_b32 v67, v4 offset:33312                           // 000000005EF4: D86C8220 43000004
	ds_read_b32 v68, v4 offset:28992                           // 000000005EFC: D86C7140 44000004
	ds_read_b32 v69, v4 offset:33344                           // 000000005F04: D86C8240 45000004
	ds_read_b32 v70, v4 offset:29024                           // 000000005F0C: D86C7160 46000004
	ds_read_b32 v71, v4 offset:33376                           // 000000005F14: D86C8260 47000004
	ds_read_b32 v72, v4 offset:37632                           // 000000005F1C: D86C9300 48000004
	ds_read_b32 v73, v4 offset:41984                           // 000000005F24: D86CA400 49000004
	ds_read_b32 v74, v4 offset:37664                           // 000000005F2C: D86C9320 4A000004
	ds_read_b32 v75, v4 offset:42016                           // 000000005F34: D86CA420 4B000004
	ds_read_b32 v76, v4 offset:37696                           // 000000005F3C: D86C9340 4C000004
	ds_read_b32 v77, v4 offset:42048                           // 000000005F44: D86CA440 4D000004
	ds_read_b32 v78, v4 offset:37728                           // 000000005F4C: D86C9360 4E000004
	ds_read_b32 v79, v4 offset:42080                           // 000000005F54: D86CA460 4F000004
	s_waitcnt lgkmcnt(0)                                       // 000000005F5C: BF8CC07F
	s_mov_b64 exec, s[20:21]                                   // 000000005F60: BEFE0114
	global_atomic_pk_add_bf16 v80, v64, s[8:9]                 // 000000005F64: DD488000 00084050
	s_mov_b64 exec, s[36:37]                                   // 000000005F6C: BEFE0124
	s_mov_b64 exec, s[20:21]                                   // 000000005F70: BEFE0114
	global_atomic_pk_add_bf16 v80, v65, s[8:9] offset:256      // 000000005F74: DD488100 00084150
	s_mov_b64 exec, s[36:37]                                   // 000000005F7C: BEFE0124
	s_mov_b64 exec, s[22:23]                                   // 000000005F80: BEFE0116
	global_atomic_pk_add_bf16 v82, v66, s[8:9]                 // 000000005F84: DD488000 00084252
	s_mov_b64 exec, s[36:37]                                   // 000000005F8C: BEFE0124
	s_mov_b64 exec, s[22:23]                                   // 000000005F90: BEFE0116
	global_atomic_pk_add_bf16 v82, v67, s[8:9] offset:256      // 000000005F94: DD488100 00084352
	s_mov_b64 exec, s[36:37]                                   // 000000005F9C: BEFE0124
	s_mov_b64 exec, s[24:25]                                   // 000000005FA0: BEFE0118
	global_atomic_pk_add_bf16 v84, v68, s[8:9]                 // 000000005FA4: DD488000 00084454
	s_mov_b64 exec, s[36:37]                                   // 000000005FAC: BEFE0124
	s_mov_b64 exec, s[24:25]                                   // 000000005FB0: BEFE0118
	global_atomic_pk_add_bf16 v84, v69, s[8:9] offset:256      // 000000005FB4: DD488100 00084554
	s_mov_b64 exec, s[36:37]                                   // 000000005FBC: BEFE0124
	s_mov_b64 exec, s[26:27]                                   // 000000005FC0: BEFE011A
	global_atomic_pk_add_bf16 v86, v70, s[8:9]                 // 000000005FC4: DD488000 00084656
	s_mov_b64 exec, s[36:37]                                   // 000000005FCC: BEFE0124
	s_mov_b64 exec, s[26:27]                                   // 000000005FD0: BEFE011A
	global_atomic_pk_add_bf16 v86, v71, s[8:9] offset:256      // 000000005FD4: DD488100 00084756
	s_mov_b64 exec, s[36:37]                                   // 000000005FDC: BEFE0124
	s_mov_b64 exec, s[28:29]                                   // 000000005FE0: BEFE011C
	global_atomic_pk_add_bf16 v88, v72, s[8:9]                 // 000000005FE4: DD488000 00084858
	s_mov_b64 exec, s[36:37]                                   // 000000005FEC: BEFE0124
	s_mov_b64 exec, s[28:29]                                   // 000000005FF0: BEFE011C
	global_atomic_pk_add_bf16 v88, v73, s[8:9] offset:256      // 000000005FF4: DD488100 00084958
	s_mov_b64 exec, s[36:37]                                   // 000000005FFC: BEFE0124
	s_mov_b64 exec, s[30:31]                                   // 000000006000: BEFE011E
	global_atomic_pk_add_bf16 v90, v74, s[8:9]                 // 000000006004: DD488000 00084A5A
	s_mov_b64 exec, s[36:37]                                   // 00000000600C: BEFE0124
	s_mov_b64 exec, s[30:31]                                   // 000000006010: BEFE011E
	global_atomic_pk_add_bf16 v90, v75, s[8:9] offset:256      // 000000006014: DD488100 00084B5A
	s_mov_b64 exec, s[36:37]                                   // 00000000601C: BEFE0124
	s_mov_b64 exec, s[32:33]                                   // 000000006020: BEFE0120
	global_atomic_pk_add_bf16 v92, v76, s[8:9]                 // 000000006024: DD488000 00084C5C
	s_mov_b64 exec, s[36:37]                                   // 00000000602C: BEFE0124
	s_mov_b64 exec, s[32:33]                                   // 000000006030: BEFE0120
	global_atomic_pk_add_bf16 v92, v77, s[8:9] offset:256      // 000000006034: DD488100 00084D5C
	s_mov_b64 exec, s[36:37]                                   // 00000000603C: BEFE0124
	s_mov_b64 exec, s[34:35]                                   // 000000006040: BEFE0122
	global_atomic_pk_add_bf16 v94, v78, s[8:9]                 // 000000006044: DD488000 00084E5E
	s_mov_b64 exec, s[36:37]                                   // 00000000604C: BEFE0124
	s_mov_b64 exec, s[34:35]                                   // 000000006050: BEFE0122
	global_atomic_pk_add_bf16 v94, v79, s[8:9] offset:256      // 000000006054: DD488100 00084F5E
	s_mov_b64 exec, s[36:37]                                   // 00000000605C: BEFE0124
	s_add_u32 s8, s59, s8                                      // 000000006060: 8008083B
	s_addc_u32 s9, 0, s9                                       // 000000006064: 82090980
	s_addk_i32 s80, 0x100                                      // 000000006068: B7500100
	s_cmp_lt_i32 s80, s81                                      // 00000000606C: BF045150
	s_cbranch_scc0 label_0FF8                                  // 000000006070: BF84029B
	s_waitcnt vmcnt(33)                                        // 000000006074: BF8C8F71
	s_barrier                                                  // 000000006078: BF8A0000
	v_mfma_f32_16x16x32_fp8_fp8 v[200:203], a[80:81], v[128:129], 0// 00000000607C: D3F300C8 0A030150
	v_mfma_f32_16x16x32_fp8_fp8 v[200:203], a[82:83], v[130:131], v[200:203]// 000000006084: D3F300C8 0F230552
	buffer_load_dwordx4 a[0:3], v39, s[12:15], 0 offen         // 00000000608C: E05C1000 80830027
	v_mfma_f32_16x16x32_fp8_fp8 v[204:207], a[80:81], v[148:149], 0// 000000006094: D3F300CC 0A032950
	v_mfma_f32_16x16x32_fp8_fp8 v[204:207], a[82:83], v[150:151], v[204:207]// 00000000609C: D3F300CC 0F332D52
	v_mfma_f32_16x16x32_fp8_fp8 v[208:211], a[84:85], v[128:129], 0// 0000000060A4: D3F300D0 0A030154
	v_mfma_f32_16x16x32_fp8_fp8 v[208:211], a[86:87], v[130:131], v[208:211]// 0000000060AC: D3F300D0 0F430556
	buffer_load_dwordx4 a[4:7], v40, s[12:15], 0 offen         // 0000000060B4: E05C1000 80830428
	v_mfma_f32_16x16x32_fp8_fp8 v[212:215], a[84:85], v[148:149], 0// 0000000060BC: D3F300D4 0A032954
	v_mfma_f32_16x16x32_fp8_fp8 v[212:215], a[86:87], v[150:151], v[212:215]// 0000000060C4: D3F300D4 0F532D56
	v_mfma_f32_16x16x32_fp8_fp8 v[216:219], a[88:89], v[128:129], 0// 0000000060CC: D3F300D8 0A030158
	v_mfma_f32_16x16x32_fp8_fp8 v[216:219], a[90:91], v[130:131], v[216:219]// 0000000060D4: D3F300D8 0F63055A
	buffer_load_dwordx4 a[8:11], v41, s[12:15], 0 offen        // 0000000060DC: E05C1000 80830829
	v_mfma_f32_16x16x32_fp8_fp8 v[220:223], a[88:89], v[148:149], 0// 0000000060E4: D3F300DC 0A032958
	v_mfma_f32_16x16x32_fp8_fp8 v[220:223], a[90:91], v[150:151], v[220:223]// 0000000060EC: D3F300DC 0F732D5A
	v_mfma_f32_16x16x32_fp8_fp8 v[224:227], a[92:93], v[128:129], 0// 0000000060F4: D3F300E0 0A03015C
	v_mfma_f32_16x16x32_fp8_fp8 v[224:227], a[94:95], v[130:131], v[224:227]// 0000000060FC: D3F300E0 0F83055E
	buffer_load_dwordx4 a[12:15], v42, s[12:15], 0 offen       // 000000006104: E05C1000 80830C2A
	s_add_u32 s12, s78, s12                                    // 00000000610C: 800C0C4E
	s_addc_u32 s13, 0, s13                                     // 000000006110: 820D0D80
	v_mfma_f32_16x16x32_fp8_fp8 v[228:231], a[92:93], v[148:149], 0// 000000006114: D3F300E4 0A03295C
	v_mfma_f32_16x16x32_fp8_fp8 v[228:231], a[94:95], v[150:151], v[228:231]// 00000000611C: D3F300E4 0F932D5E
	s_waitcnt vmcnt(33)                                        // 000000006124: BF8C8F71
	v_mfma_f32_16x16x32_fp8_fp8 v[200:203], a[96:97], v[132:133], v[200:203]// 000000006128: D3F300C8 0F230960
	v_mfma_f32_16x16x32_fp8_fp8 v[200:203], a[98:99], v[134:135], v[200:203]// 000000006130: D3F300C8 0F230D62
	buffer_load_dwordx4 a[16:19], v39, s[12:15], 0 offen       // 000000006138: E05C1000 80831027
	v_mfma_f32_16x16x32_fp8_fp8 v[204:207], a[96:97], v[152:153], v[204:207]// 000000006140: D3F300CC 0F333160
	v_mfma_f32_16x16x32_fp8_fp8 v[204:207], a[98:99], v[154:155], v[204:207]// 000000006148: D3F300CC 0F333562
	v_mfma_f32_16x16x32_fp8_fp8 v[208:211], a[100:101], v[132:133], v[208:211]// 000000006150: D3F300D0 0F430964
	v_mfma_f32_16x16x32_fp8_fp8 v[208:211], a[102:103], v[134:135], v[208:211]// 000000006158: D3F300D0 0F430D66
	buffer_load_dwordx4 a[20:23], v40, s[12:15], 0 offen       // 000000006160: E05C1000 80831428
	v_mfma_f32_16x16x32_fp8_fp8 v[212:215], a[100:101], v[152:153], v[212:215]// 000000006168: D3F300D4 0F533164
	v_mfma_f32_16x16x32_fp8_fp8 v[212:215], a[102:103], v[154:155], v[212:215]// 000000006170: D3F300D4 0F533566
	v_mfma_f32_16x16x32_fp8_fp8 v[216:219], a[104:105], v[132:133], v[216:219]// 000000006178: D3F300D8 0F630968
	v_mfma_f32_16x16x32_fp8_fp8 v[216:219], a[106:107], v[134:135], v[216:219]// 000000006180: D3F300D8 0F630D6A
	buffer_load_dwordx4 a[24:27], v41, s[12:15], 0 offen       // 000000006188: E05C1000 80831829
	v_mfma_f32_16x16x32_fp8_fp8 v[220:223], a[104:105], v[152:153], v[220:223]// 000000006190: D3F300DC 0F733168
	v_mfma_f32_16x16x32_fp8_fp8 v[220:223], a[106:107], v[154:155], v[220:223]// 000000006198: D3F300DC 0F73356A
	v_mfma_f32_16x16x32_fp8_fp8 v[224:227], a[108:109], v[132:133], v[224:227]// 0000000061A0: D3F300E0 0F83096C
	v_mfma_f32_16x16x32_fp8_fp8 v[224:227], a[110:111], v[134:135], v[224:227]// 0000000061A8: D3F300E0 0F830D6E
	buffer_load_dwordx4 a[28:31], v42, s[12:15], 0 offen       // 0000000061B0: E05C1000 80831C2A
	s_add_u32 s12, s78, s12                                    // 0000000061B8: 800C0C4E
	s_addc_u32 s13, 0, s13                                     // 0000000061BC: 820D0D80
	v_mfma_f32_16x16x32_fp8_fp8 v[228:231], a[108:109], v[152:153], v[228:231]// 0000000061C0: D3F300E4 0F93316C
	v_mfma_f32_16x16x32_fp8_fp8 v[228:231], a[110:111], v[154:155], v[228:231]// 0000000061C8: D3F300E4 0F93356E
	s_waitcnt vmcnt(33)                                        // 0000000061D0: BF8C8F71
	v_mfma_f32_16x16x32_fp8_fp8 v[200:203], a[112:113], v[136:137], v[200:203]// 0000000061D4: D3F300C8 0F231170
	v_mfma_f32_16x16x32_fp8_fp8 v[200:203], a[114:115], v[138:139], v[200:203]// 0000000061DC: D3F300C8 0F231572
	buffer_load_dwordx4 a[32:35], v39, s[12:15], 0 offen       // 0000000061E4: E05C1000 80832027
	v_mfma_f32_16x16x32_fp8_fp8 v[204:207], a[112:113], v[156:157], v[204:207]// 0000000061EC: D3F300CC 0F333970
	v_mfma_f32_16x16x32_fp8_fp8 v[204:207], a[114:115], v[158:159], v[204:207]// 0000000061F4: D3F300CC 0F333D72
	v_mfma_f32_16x16x32_fp8_fp8 v[208:211], a[116:117], v[136:137], v[208:211]// 0000000061FC: D3F300D0 0F431174
	v_mfma_f32_16x16x32_fp8_fp8 v[208:211], a[118:119], v[138:139], v[208:211]// 000000006204: D3F300D0 0F431576
	buffer_load_dwordx4 a[36:39], v40, s[12:15], 0 offen       // 00000000620C: E05C1000 80832428
	v_mfma_f32_16x16x32_fp8_fp8 v[212:215], a[116:117], v[156:157], v[212:215]// 000000006214: D3F300D4 0F533974
	v_mfma_f32_16x16x32_fp8_fp8 v[212:215], a[118:119], v[158:159], v[212:215]// 00000000621C: D3F300D4 0F533D76
	v_mfma_f32_16x16x32_fp8_fp8 v[216:219], a[120:121], v[136:137], v[216:219]// 000000006224: D3F300D8 0F631178
	v_mfma_f32_16x16x32_fp8_fp8 v[216:219], a[122:123], v[138:139], v[216:219]// 00000000622C: D3F300D8 0F63157A
	buffer_load_dwordx4 a[40:43], v41, s[12:15], 0 offen       // 000000006234: E05C1000 80832829
	v_mfma_f32_16x16x32_fp8_fp8 v[220:223], a[120:121], v[156:157], v[220:223]// 00000000623C: D3F300DC 0F733978
	v_mfma_f32_16x16x32_fp8_fp8 v[220:223], a[122:123], v[158:159], v[220:223]// 000000006244: D3F300DC 0F733D7A
	v_mfma_f32_16x16x32_fp8_fp8 v[224:227], a[124:125], v[136:137], v[224:227]// 00000000624C: D3F300E0 0F83117C
	v_mfma_f32_16x16x32_fp8_fp8 v[224:227], a[126:127], v[138:139], v[224:227]// 000000006254: D3F300E0 0F83157E
	buffer_load_dwordx4 a[44:47], v42, s[12:15], 0 offen       // 00000000625C: E05C1000 80832C2A
	s_add_u32 s12, s78, s12                                    // 000000006264: 800C0C4E
	s_addc_u32 s13, 0, s13                                     // 000000006268: 820D0D80
	v_mfma_f32_16x16x32_fp8_fp8 v[228:231], a[124:125], v[156:157], v[228:231]// 00000000626C: D3F300E4 0F93397C
	v_mfma_f32_16x16x32_fp8_fp8 v[228:231], a[126:127], v[158:159], v[228:231]// 000000006274: D3F300E4 0F933D7E
	s_waitcnt vmcnt(33)                                        // 00000000627C: BF8C8F71
	v_mfma_f32_16x16x32_fp8_fp8 v[200:203], a[128:129], v[140:141], v[200:203]// 000000006280: D3F300C8 0F231980
	v_mfma_f32_16x16x32_fp8_fp8 v[200:203], a[130:131], v[142:143], v[200:203]// 000000006288: D3F300C8 0F231D82
	buffer_load_dwordx4 a[48:51], v39, s[12:15], 0 offen       // 000000006290: E05C1000 80833027
	v_mfma_f32_16x16x32_fp8_fp8 v[204:207], a[128:129], v[160:161], v[204:207]// 000000006298: D3F300CC 0F334180
	v_mfma_f32_16x16x32_fp8_fp8 v[204:207], a[130:131], v[162:163], v[204:207]// 0000000062A0: D3F300CC 0F334582
	v_mfma_f32_16x16x32_fp8_fp8 v[208:211], a[132:133], v[140:141], v[208:211]// 0000000062A8: D3F300D0 0F431984
	v_mfma_f32_16x16x32_fp8_fp8 v[208:211], a[134:135], v[142:143], v[208:211]// 0000000062B0: D3F300D0 0F431D86
	buffer_load_dwordx4 a[52:55], v40, s[12:15], 0 offen       // 0000000062B8: E05C1000 80833428
	v_mfma_f32_16x16x32_fp8_fp8 v[212:215], a[132:133], v[160:161], v[212:215]// 0000000062C0: D3F300D4 0F534184
	v_mfma_f32_16x16x32_fp8_fp8 v[212:215], a[134:135], v[162:163], v[212:215]// 0000000062C8: D3F300D4 0F534586
	v_mfma_f32_16x16x32_fp8_fp8 v[216:219], a[136:137], v[140:141], v[216:219]// 0000000062D0: D3F300D8 0F631988
	v_mfma_f32_16x16x32_fp8_fp8 v[216:219], a[138:139], v[142:143], v[216:219]// 0000000062D8: D3F300D8 0F631D8A
	buffer_load_dwordx4 a[56:59], v41, s[12:15], 0 offen       // 0000000062E0: E05C1000 80833829
	v_mfma_f32_16x16x32_fp8_fp8 v[220:223], a[136:137], v[160:161], v[220:223]// 0000000062E8: D3F300DC 0F734188
	v_mfma_f32_16x16x32_fp8_fp8 v[220:223], a[138:139], v[162:163], v[220:223]// 0000000062F0: D3F300DC 0F73458A
	v_mfma_f32_16x16x32_fp8_fp8 v[224:227], a[140:141], v[140:141], v[224:227]// 0000000062F8: D3F300E0 0F83198C
	v_mfma_f32_16x16x32_fp8_fp8 v[224:227], a[142:143], v[142:143], v[224:227]// 000000006300: D3F300E0 0F831D8E
	buffer_load_dwordx4 a[60:63], v42, s[12:15], 0 offen       // 000000006308: E05C1000 80833C2A
	s_add_u32 s12, s78, s12                                    // 000000006310: 800C0C4E
	s_addc_u32 s13, 0, s13                                     // 000000006314: 820D0D80
	v_mfma_f32_16x16x32_fp8_fp8 v[228:231], a[140:141], v[160:161], v[228:231]// 000000006318: D3F300E4 0F93418C
	v_mfma_f32_16x16x32_fp8_fp8 v[228:231], a[142:143], v[162:163], v[228:231]// 000000006320: D3F300E4 0F93458E
	s_waitcnt vmcnt(32)                                        // 000000006328: BF8C8F70
	v_mfma_f32_16x16x32_fp8_fp8 v[200:203], a[144:145], v[144:145], v[200:203]// 00000000632C: D3F300C8 0F232190
	v_mfma_f32_16x16x32_fp8_fp8 v[200:203], a[146:147], v[146:147], v[200:203]// 000000006334: D3F300C8 0F232592
	buffer_load_dwordx4 a[64:67], v39, s[12:15], 0 offen       // 00000000633C: E05C1000 80834027
	v_mfma_f32_16x16x32_fp8_fp8 v[204:207], a[144:145], v[164:165], v[204:207]// 000000006344: D3F300CC 0F334990
	v_mfma_f32_16x16x32_fp8_fp8 v[204:207], a[146:147], v[166:167], v[204:207]// 00000000634C: D3F300CC 0F334D92
	buffer_load_dword v12, v5, s[16:19], 0 offen               // 000000006354: E0501000 80040C05
	v_mfma_f32_16x16x32_fp8_fp8 v[208:211], a[148:149], v[144:145], v[208:211]// 00000000635C: D3F300D0 0F432194
	v_mfma_f32_16x16x32_fp8_fp8 v[208:211], a[150:151], v[146:147], v[208:211]// 000000006364: D3F300D0 0F432596
	buffer_load_dwordx4 a[68:71], v40, s[12:15], 0 offen       // 00000000636C: E05C1000 80834428
	v_mfma_f32_16x16x32_fp8_fp8 v[212:215], a[148:149], v[164:165], v[212:215]// 000000006374: D3F300D4 0F534994
	v_mfma_f32_16x16x32_fp8_fp8 v[212:215], a[150:151], v[166:167], v[212:215]// 00000000637C: D3F300D4 0F534D96
	v_mfma_f32_16x16x32_fp8_fp8 v[216:219], a[152:153], v[144:145], v[216:219]// 000000006384: D3F300D8 0F632198
	v_mfma_f32_16x16x32_fp8_fp8 v[216:219], a[154:155], v[146:147], v[216:219]// 00000000638C: D3F300D8 0F63259A
	buffer_load_dwordx4 a[72:75], v41, s[12:15], 0 offen       // 000000006394: E05C1000 80834829
	v_mfma_f32_16x16x32_fp8_fp8 v[220:223], a[152:153], v[164:165], v[220:223]// 00000000639C: D3F300DC 0F734998
	v_mfma_f32_16x16x32_fp8_fp8 v[220:223], a[154:155], v[166:167], v[220:223]// 0000000063A4: D3F300DC 0F734D9A
	v_mfma_f32_16x16x32_fp8_fp8 v[224:227], a[156:157], v[144:145], v[224:227]// 0000000063AC: D3F300E0 0F83219C
	v_mfma_f32_16x16x32_fp8_fp8 v[224:227], a[158:159], v[146:147], v[224:227]// 0000000063B4: D3F300E0 0F83259E
	buffer_load_dwordx4 a[76:79], v42, s[12:15], 0 offen       // 0000000063BC: E05C1000 80834C2A
	v_mfma_f32_16x16x32_fp8_fp8 v[228:231], a[156:157], v[164:165], v[228:231]// 0000000063C4: D3F300E4 0F93499C
	v_mfma_f32_16x16x32_fp8_fp8 v[228:231], a[158:159], v[166:167], v[228:231]// 0000000063CC: D3F300E4 0F934D9E
	s_add_u32 s60, 0x200, s80                                  // 0000000063D4: 803C50FF 00000200
	s_cmp_lt_u32 s60, s81                                      // 0000000063DC: BF0A513C
	s_cselect_b32 s56, s56, 0                                  // 0000000063E0: 85388038
	s_cselect_b32 s78, s78, 0                                  // 0000000063E4: 854E804E
	s_cselect_b32 s79, s79, 0                                  // 0000000063E8: 854F804F
	s_add_u32 s12, s56, s12                                    // 0000000063EC: 800C0C38
	s_addc_u32 s13, 0, s13                                     // 0000000063F0: 820D0D80
	s_add_u32 s16, s79, s16                                    // 0000000063F4: 8010104F
	s_addc_u32 s17, 0, s17                                     // 0000000063F8: 82111180
	v_mul_f32_e32 v200, v24, v200                              // 0000000063FC: 0B919118
	v_mul_f32_e32 v201, v24, v201                              // 000000006400: 0B939318
	v_mul_f32_e32 v202, v24, v202                              // 000000006404: 0B959518
	v_mul_f32_e32 v203, v24, v203                              // 000000006408: 0B979718
	v_mul_f32_dpp v200, v13, v200 row_newbcast:0 row_mask:0xf bank_mask:0xf// 00000000640C: 0B9190FA FF01500D
	v_mul_f32_dpp v201, v13, v201 row_newbcast:1 row_mask:0xf bank_mask:0xf// 000000006414: 0B9392FA FF01510D
	v_mul_f32_dpp v202, v13, v202 row_newbcast:2 row_mask:0xf bank_mask:0xf// 00000000641C: 0B9594FA FF01520D
	v_mul_f32_dpp v203, v13, v203 row_newbcast:3 row_mask:0xf bank_mask:0xf// 000000006424: 0B9796FA FF01530D
	v_mul_f32_e32 v204, v25, v204                              // 00000000642C: 0B999919
	v_mul_f32_e32 v205, v25, v205                              // 000000006430: 0B9B9B19
	v_mul_f32_e32 v206, v25, v206                              // 000000006434: 0B9D9D19
	v_mul_f32_e32 v207, v25, v207                              // 000000006438: 0B9F9F19
	v_mul_f32_dpp v204, v13, v204 row_newbcast:0 row_mask:0xf bank_mask:0xf// 00000000643C: 0B9998FA FF01500D
	v_mul_f32_dpp v205, v13, v205 row_newbcast:1 row_mask:0xf bank_mask:0xf// 000000006444: 0B9B9AFA FF01510D
	v_mul_f32_dpp v206, v13, v206 row_newbcast:2 row_mask:0xf bank_mask:0xf// 00000000644C: 0B9D9CFA FF01520D
	v_mul_f32_dpp v207, v13, v207 row_newbcast:3 row_mask:0xf bank_mask:0xf// 000000006454: 0B9F9EFA FF01530D
	v_mul_f32_e32 v208, v24, v208                              // 00000000645C: 0BA1A118
	v_mul_f32_e32 v209, v24, v209                              // 000000006460: 0BA3A318
	v_mul_f32_e32 v210, v24, v210                              // 000000006464: 0BA5A518
	v_mul_f32_e32 v211, v24, v211                              // 000000006468: 0BA7A718
	v_mul_f32_dpp v208, v13, v208 row_newbcast:4 row_mask:0xf bank_mask:0xf// 00000000646C: 0BA1A0FA FF01540D
	v_mul_f32_dpp v209, v13, v209 row_newbcast:5 row_mask:0xf bank_mask:0xf// 000000006474: 0BA3A2FA FF01550D
	v_mul_f32_dpp v210, v13, v210 row_newbcast:6 row_mask:0xf bank_mask:0xf// 00000000647C: 0BA5A4FA FF01560D
	v_mul_f32_dpp v211, v13, v211 row_newbcast:7 row_mask:0xf bank_mask:0xf// 000000006484: 0BA7A6FA FF01570D
	v_mul_f32_e32 v212, v25, v212                              // 00000000648C: 0BA9A919
	v_mul_f32_e32 v213, v25, v213                              // 000000006490: 0BABAB19
	v_mul_f32_e32 v214, v25, v214                              // 000000006494: 0BADAD19
	v_mul_f32_e32 v215, v25, v215                              // 000000006498: 0BAFAF19
	v_mul_f32_dpp v212, v13, v212 row_newbcast:4 row_mask:0xf bank_mask:0xf// 00000000649C: 0BA9A8FA FF01540D
	v_mul_f32_dpp v213, v13, v213 row_newbcast:5 row_mask:0xf bank_mask:0xf// 0000000064A4: 0BABAAFA FF01550D
	v_mul_f32_dpp v214, v13, v214 row_newbcast:6 row_mask:0xf bank_mask:0xf// 0000000064AC: 0BADACFA FF01560D
	v_mul_f32_dpp v215, v13, v215 row_newbcast:7 row_mask:0xf bank_mask:0xf// 0000000064B4: 0BAFAEFA FF01570D
	v_mul_f32_e32 v216, v24, v216                              // 0000000064BC: 0BB1B118
	v_mul_f32_e32 v217, v24, v217                              // 0000000064C0: 0BB3B318
	v_mul_f32_e32 v218, v24, v218                              // 0000000064C4: 0BB5B518
	v_mul_f32_e32 v219, v24, v219                              // 0000000064C8: 0BB7B718
	v_mul_f32_dpp v216, v13, v216 row_newbcast:8 row_mask:0xf bank_mask:0xf// 0000000064CC: 0BB1B0FA FF01580D
	v_mul_f32_dpp v217, v13, v217 row_newbcast:9 row_mask:0xf bank_mask:0xf// 0000000064D4: 0BB3B2FA FF01590D
	v_mul_f32_dpp v218, v13, v218 row_newbcast:10 row_mask:0xf bank_mask:0xf// 0000000064DC: 0BB5B4FA FF015A0D
	v_mul_f32_dpp v219, v13, v219 row_newbcast:11 row_mask:0xf bank_mask:0xf// 0000000064E4: 0BB7B6FA FF015B0D
	v_mul_f32_e32 v220, v25, v220                              // 0000000064EC: 0BB9B919
	v_mul_f32_e32 v221, v25, v221                              // 0000000064F0: 0BBBBB19
	v_mul_f32_e32 v222, v25, v222                              // 0000000064F4: 0BBDBD19
	v_mul_f32_e32 v223, v25, v223                              // 0000000064F8: 0BBFBF19
	v_mul_f32_dpp v220, v13, v220 row_newbcast:8 row_mask:0xf bank_mask:0xf// 0000000064FC: 0BB9B8FA FF01580D
	v_mul_f32_dpp v221, v13, v221 row_newbcast:9 row_mask:0xf bank_mask:0xf// 000000006504: 0BBBBAFA FF01590D
	v_mul_f32_dpp v222, v13, v222 row_newbcast:10 row_mask:0xf bank_mask:0xf// 00000000650C: 0BBDBCFA FF015A0D
	v_mul_f32_dpp v223, v13, v223 row_newbcast:11 row_mask:0xf bank_mask:0xf// 000000006514: 0BBFBEFA FF015B0D
	v_mul_f32_e32 v224, v24, v224                              // 00000000651C: 0BC1C118
	v_mul_f32_e32 v225, v24, v225                              // 000000006520: 0BC3C318
	v_mul_f32_e32 v226, v24, v226                              // 000000006524: 0BC5C518
	v_mul_f32_e32 v227, v24, v227                              // 000000006528: 0BC7C718
	v_mul_f32_dpp v224, v13, v224 row_newbcast:12 row_mask:0xf bank_mask:0xf// 00000000652C: 0BC1C0FA FF015C0D
	v_mul_f32_dpp v225, v13, v225 row_newbcast:13 row_mask:0xf bank_mask:0xf// 000000006534: 0BC3C2FA FF015D0D
	v_mul_f32_dpp v226, v13, v226 row_newbcast:14 row_mask:0xf bank_mask:0xf// 00000000653C: 0BC5C4FA FF015E0D
	v_mul_f32_dpp v227, v13, v227 row_newbcast:15 row_mask:0xf bank_mask:0xf// 000000006544: 0BC7C6FA FF015F0D
	v_mul_f32_e32 v228, v25, v228                              // 00000000654C: 0BC9C919
	v_mul_f32_e32 v229, v25, v229                              // 000000006550: 0BCBCB19
	v_mul_f32_e32 v230, v25, v230                              // 000000006554: 0BCDCD19
	v_mul_f32_e32 v231, v25, v231                              // 000000006558: 0BCFCF19
	v_mul_f32_dpp v228, v13, v228 row_newbcast:12 row_mask:0xf bank_mask:0xf// 00000000655C: 0BC9C8FA FF015C0D
	v_mul_f32_dpp v229, v13, v229 row_newbcast:13 row_mask:0xf bank_mask:0xf// 000000006564: 0BCBCAFA FF015D0D
	v_mul_f32_dpp v230, v13, v230 row_newbcast:14 row_mask:0xf bank_mask:0xf// 00000000656C: 0BCDCCFA FF015E0D
	v_mul_f32_dpp v231, v13, v231 row_newbcast:15 row_mask:0xf bank_mask:0xf// 000000006574: 0BCFCEFA FF015F0D
	v_cmp_u_f32_e64 s[48:49], v200, v200                       // 00000000657C: D0480030 000391C8
	v_add3_u32 v43, v200, v46, 1                               // 000000006584: D1FF002B 02065DC8
	v_cndmask_b32_e64 v50, v43, v45, s[48:49]                  // 00000000658C: D1000032 00C25B2B
	v_cmp_u_f32_e64 s[48:49], v201, v201                       // 000000006594: D0480030 000393C9
	v_add3_u32 v43, v201, v46, 1                               // 00000000659C: D1FF002B 02065DC9
	v_cndmask_b32_e64 v51, v43, v45, s[48:49]                  // 0000000065A4: D1000033 00C25B2B
	v_perm_b32 v200, v51, v50, s52                             // 0000000065AC: D1ED00C8 00D26533
	v_cmp_u_f32_e64 s[48:49], v202, v202                       // 0000000065B4: D0480030 000395CA
	v_add3_u32 v43, v202, v46, 1                               // 0000000065BC: D1FF002B 02065DCA
	v_cndmask_b32_e64 v50, v43, v45, s[48:49]                  // 0000000065C4: D1000032 00C25B2B
	v_cmp_u_f32_e64 s[48:49], v203, v203                       // 0000000065CC: D0480030 000397CB
	v_add3_u32 v43, v203, v46, 1                               // 0000000065D4: D1FF002B 02065DCB
	v_cndmask_b32_e64 v51, v43, v45, s[48:49]                  // 0000000065DC: D1000033 00C25B2B
	v_perm_b32 v201, v51, v50, s52                             // 0000000065E4: D1ED00C9 00D26533
	v_cmp_u_f32_e64 s[48:49], v204, v204                       // 0000000065EC: D0480030 000399CC
	v_add3_u32 v43, v204, v46, 1                               // 0000000065F4: D1FF002B 02065DCC
	v_cndmask_b32_e64 v50, v43, v45, s[48:49]                  // 0000000065FC: D1000032 00C25B2B
	v_cmp_u_f32_e64 s[48:49], v205, v205                       // 000000006604: D0480030 00039BCD
	v_add3_u32 v43, v205, v46, 1                               // 00000000660C: D1FF002B 02065DCD
	v_cndmask_b32_e64 v51, v43, v45, s[48:49]                  // 000000006614: D1000033 00C25B2B
	v_perm_b32 v202, v51, v50, s52                             // 00000000661C: D1ED00CA 00D26533
	v_cmp_u_f32_e64 s[48:49], v206, v206                       // 000000006624: D0480030 00039DCE
	v_add3_u32 v43, v206, v46, 1                               // 00000000662C: D1FF002B 02065DCE
	v_cndmask_b32_e64 v50, v43, v45, s[48:49]                  // 000000006634: D1000032 00C25B2B
	v_cmp_u_f32_e64 s[48:49], v207, v207                       // 00000000663C: D0480030 00039FCF
	v_add3_u32 v43, v207, v46, 1                               // 000000006644: D1FF002B 02065DCF
	v_cndmask_b32_e64 v51, v43, v45, s[48:49]                  // 00000000664C: D1000033 00C25B2B
	v_perm_b32 v203, v51, v50, s52                             // 000000006654: D1ED00CB 00D26533
	v_cmp_u_f32_e64 s[48:49], v208, v208                       // 00000000665C: D0480030 0003A1D0
	v_add3_u32 v43, v208, v46, 1                               // 000000006664: D1FF002B 02065DD0
	v_cndmask_b32_e64 v50, v43, v45, s[48:49]                  // 00000000666C: D1000032 00C25B2B
	v_cmp_u_f32_e64 s[48:49], v209, v209                       // 000000006674: D0480030 0003A3D1
	v_add3_u32 v43, v209, v46, 1                               // 00000000667C: D1FF002B 02065DD1
	v_cndmask_b32_e64 v51, v43, v45, s[48:49]                  // 000000006684: D1000033 00C25B2B
	v_perm_b32 v204, v51, v50, s52                             // 00000000668C: D1ED00CC 00D26533
	v_cmp_u_f32_e64 s[48:49], v210, v210                       // 000000006694: D0480030 0003A5D2
	v_add3_u32 v43, v210, v46, 1                               // 00000000669C: D1FF002B 02065DD2
	v_cndmask_b32_e64 v50, v43, v45, s[48:49]                  // 0000000066A4: D1000032 00C25B2B
	v_cmp_u_f32_e64 s[48:49], v211, v211                       // 0000000066AC: D0480030 0003A7D3
	v_add3_u32 v43, v211, v46, 1                               // 0000000066B4: D1FF002B 02065DD3
	v_cndmask_b32_e64 v51, v43, v45, s[48:49]                  // 0000000066BC: D1000033 00C25B2B
	v_perm_b32 v205, v51, v50, s52                             // 0000000066C4: D1ED00CD 00D26533
	v_cmp_u_f32_e64 s[48:49], v212, v212                       // 0000000066CC: D0480030 0003A9D4
	v_add3_u32 v43, v212, v46, 1                               // 0000000066D4: D1FF002B 02065DD4
	v_cndmask_b32_e64 v50, v43, v45, s[48:49]                  // 0000000066DC: D1000032 00C25B2B
	v_cmp_u_f32_e64 s[48:49], v213, v213                       // 0000000066E4: D0480030 0003ABD5
	v_add3_u32 v43, v213, v46, 1                               // 0000000066EC: D1FF002B 02065DD5
	v_cndmask_b32_e64 v51, v43, v45, s[48:49]                  // 0000000066F4: D1000033 00C25B2B
	v_perm_b32 v206, v51, v50, s52                             // 0000000066FC: D1ED00CE 00D26533
	v_cmp_u_f32_e64 s[48:49], v214, v214                       // 000000006704: D0480030 0003ADD6
	v_add3_u32 v43, v214, v46, 1                               // 00000000670C: D1FF002B 02065DD6
	v_cndmask_b32_e64 v50, v43, v45, s[48:49]                  // 000000006714: D1000032 00C25B2B
	v_cmp_u_f32_e64 s[48:49], v215, v215                       // 00000000671C: D0480030 0003AFD7
	v_add3_u32 v43, v215, v46, 1                               // 000000006724: D1FF002B 02065DD7
	v_cndmask_b32_e64 v51, v43, v45, s[48:49]                  // 00000000672C: D1000033 00C25B2B
	v_perm_b32 v207, v51, v50, s52                             // 000000006734: D1ED00CF 00D26533
	v_cmp_u_f32_e64 s[48:49], v216, v216                       // 00000000673C: D0480030 0003B1D8
	v_add3_u32 v43, v216, v46, 1                               // 000000006744: D1FF002B 02065DD8
	v_cndmask_b32_e64 v50, v43, v45, s[48:49]                  // 00000000674C: D1000032 00C25B2B
	v_cmp_u_f32_e64 s[48:49], v217, v217                       // 000000006754: D0480030 0003B3D9
	v_add3_u32 v43, v217, v46, 1                               // 00000000675C: D1FF002B 02065DD9
	v_cndmask_b32_e64 v51, v43, v45, s[48:49]                  // 000000006764: D1000033 00C25B2B
	v_perm_b32 v208, v51, v50, s52                             // 00000000676C: D1ED00D0 00D26533
	v_cmp_u_f32_e64 s[48:49], v218, v218                       // 000000006774: D0480030 0003B5DA
	v_add3_u32 v43, v218, v46, 1                               // 00000000677C: D1FF002B 02065DDA
	v_cndmask_b32_e64 v50, v43, v45, s[48:49]                  // 000000006784: D1000032 00C25B2B
	v_cmp_u_f32_e64 s[48:49], v219, v219                       // 00000000678C: D0480030 0003B7DB
	v_add3_u32 v43, v219, v46, 1                               // 000000006794: D1FF002B 02065DDB
	v_cndmask_b32_e64 v51, v43, v45, s[48:49]                  // 00000000679C: D1000033 00C25B2B
	v_perm_b32 v209, v51, v50, s52                             // 0000000067A4: D1ED00D1 00D26533
	v_cmp_u_f32_e64 s[48:49], v220, v220                       // 0000000067AC: D0480030 0003B9DC
	v_add3_u32 v43, v220, v46, 1                               // 0000000067B4: D1FF002B 02065DDC
	v_cndmask_b32_e64 v50, v43, v45, s[48:49]                  // 0000000067BC: D1000032 00C25B2B
	v_cmp_u_f32_e64 s[48:49], v221, v221                       // 0000000067C4: D0480030 0003BBDD
	v_add3_u32 v43, v221, v46, 1                               // 0000000067CC: D1FF002B 02065DDD
	v_cndmask_b32_e64 v51, v43, v45, s[48:49]                  // 0000000067D4: D1000033 00C25B2B
	v_perm_b32 v210, v51, v50, s52                             // 0000000067DC: D1ED00D2 00D26533
	v_cmp_u_f32_e64 s[48:49], v222, v222                       // 0000000067E4: D0480030 0003BDDE
	v_add3_u32 v43, v222, v46, 1                               // 0000000067EC: D1FF002B 02065DDE
	v_cndmask_b32_e64 v50, v43, v45, s[48:49]                  // 0000000067F4: D1000032 00C25B2B
	v_cmp_u_f32_e64 s[48:49], v223, v223                       // 0000000067FC: D0480030 0003BFDF
	v_add3_u32 v43, v223, v46, 1                               // 000000006804: D1FF002B 02065DDF
	v_cndmask_b32_e64 v51, v43, v45, s[48:49]                  // 00000000680C: D1000033 00C25B2B
	v_perm_b32 v211, v51, v50, s52                             // 000000006814: D1ED00D3 00D26533
	v_cmp_u_f32_e64 s[48:49], v224, v224                       // 00000000681C: D0480030 0003C1E0
	v_add3_u32 v43, v224, v46, 1                               // 000000006824: D1FF002B 02065DE0
	v_cndmask_b32_e64 v50, v43, v45, s[48:49]                  // 00000000682C: D1000032 00C25B2B
	v_cmp_u_f32_e64 s[48:49], v225, v225                       // 000000006834: D0480030 0003C3E1
	v_add3_u32 v43, v225, v46, 1                               // 00000000683C: D1FF002B 02065DE1
	v_cndmask_b32_e64 v51, v43, v45, s[48:49]                  // 000000006844: D1000033 00C25B2B
	v_perm_b32 v212, v51, v50, s52                             // 00000000684C: D1ED00D4 00D26533
	v_cmp_u_f32_e64 s[48:49], v226, v226                       // 000000006854: D0480030 0003C5E2
	v_add3_u32 v43, v226, v46, 1                               // 00000000685C: D1FF002B 02065DE2
	v_cndmask_b32_e64 v50, v43, v45, s[48:49]                  // 000000006864: D1000032 00C25B2B
	v_cmp_u_f32_e64 s[48:49], v227, v227                       // 00000000686C: D0480030 0003C7E3
	v_add3_u32 v43, v227, v46, 1                               // 000000006874: D1FF002B 02065DE3
	v_cndmask_b32_e64 v51, v43, v45, s[48:49]                  // 00000000687C: D1000033 00C25B2B
	v_perm_b32 v213, v51, v50, s52                             // 000000006884: D1ED00D5 00D26533
	v_cmp_u_f32_e64 s[48:49], v228, v228                       // 00000000688C: D0480030 0003C9E4
	v_add3_u32 v43, v228, v46, 1                               // 000000006894: D1FF002B 02065DE4
	v_cndmask_b32_e64 v50, v43, v45, s[48:49]                  // 00000000689C: D1000032 00C25B2B
	v_cmp_u_f32_e64 s[48:49], v229, v229                       // 0000000068A4: D0480030 0003CBE5
	v_add3_u32 v43, v229, v46, 1                               // 0000000068AC: D1FF002B 02065DE5
	v_cndmask_b32_e64 v51, v43, v45, s[48:49]                  // 0000000068B4: D1000033 00C25B2B
	v_perm_b32 v214, v51, v50, s52                             // 0000000068BC: D1ED00D6 00D26533
	v_cmp_u_f32_e64 s[48:49], v230, v230                       // 0000000068C4: D0480030 0003CDE6
	v_add3_u32 v43, v230, v46, 1                               // 0000000068CC: D1FF002B 02065DE6
	v_cndmask_b32_e64 v50, v43, v45, s[48:49]                  // 0000000068D4: D1000032 00C25B2B
	v_cmp_u_f32_e64 s[48:49], v231, v231                       // 0000000068DC: D0480030 0003CFE7
	v_add3_u32 v43, v231, v46, 1                               // 0000000068E4: D1FF002B 02065DE7
	v_cndmask_b32_e64 v51, v43, v45, s[48:49]                  // 0000000068EC: D1000033 00C25B2B
	v_perm_b32 v215, v51, v50, s52                             // 0000000068F4: D1ED00D7 00D26533
	ds_write_b64 v3, v[200:201] offset:28928                   // 0000000068FC: D89A7100 0000C803
	ds_write_b64 v3, v[202:203] offset:37632                   // 000000006904: D89A9300 0000CA03
	ds_write_b64 v3, v[204:205] offset:31104                   // 00000000690C: D89A7980 0000CC03
	ds_write_b64 v3, v[206:207] offset:39808                   // 000000006914: D89A9B80 0000CE03
	ds_write_b64 v3, v[208:209] offset:33280                   // 00000000691C: D89A8200 0000D003
	ds_write_b64 v3, v[210:211] offset:41984                   // 000000006924: D89AA400 0000D203
	ds_write_b64 v3, v[212:213] offset:35456                   // 00000000692C: D89A8A80 0000D403
	ds_write_b64 v3, v[214:215] offset:44160                   // 000000006934: D89AAC80 0000D603
	s_waitcnt lgkmcnt(0)                                       // 00000000693C: BF8CC07F
	s_barrier                                                  // 000000006940: BF8A0000
	ds_read_b32 v64, v4 offset:28928                           // 000000006944: D86C7100 40000004
	ds_read_b32 v65, v4 offset:33280                           // 00000000694C: D86C8200 41000004
	ds_read_b32 v66, v4 offset:28960                           // 000000006954: D86C7120 42000004
	ds_read_b32 v67, v4 offset:33312                           // 00000000695C: D86C8220 43000004
	ds_read_b32 v68, v4 offset:28992                           // 000000006964: D86C7140 44000004
	ds_read_b32 v69, v4 offset:33344                           // 00000000696C: D86C8240 45000004
	ds_read_b32 v70, v4 offset:29024                           // 000000006974: D86C7160 46000004
	ds_read_b32 v71, v4 offset:33376                           // 00000000697C: D86C8260 47000004
	ds_read_b32 v72, v4 offset:37632                           // 000000006984: D86C9300 48000004
	ds_read_b32 v73, v4 offset:41984                           // 00000000698C: D86CA400 49000004
	ds_read_b32 v74, v4 offset:37664                           // 000000006994: D86C9320 4A000004
	ds_read_b32 v75, v4 offset:42016                           // 00000000699C: D86CA420 4B000004
	ds_read_b32 v76, v4 offset:37696                           // 0000000069A4: D86C9340 4C000004
	ds_read_b32 v77, v4 offset:42048                           // 0000000069AC: D86CA440 4D000004
	ds_read_b32 v78, v4 offset:37728                           // 0000000069B4: D86C9360 4E000004
	ds_read_b32 v79, v4 offset:42080                           // 0000000069BC: D86CA460 4F000004
	s_waitcnt lgkmcnt(0)                                       // 0000000069C4: BF8CC07F
	s_mov_b64 exec, s[20:21]                                   // 0000000069C8: BEFE0114
	global_atomic_pk_add_bf16 v80, v64, s[8:9]                 // 0000000069CC: DD488000 00084050
	s_mov_b64 exec, s[36:37]                                   // 0000000069D4: BEFE0124
	s_mov_b64 exec, s[20:21]                                   // 0000000069D8: BEFE0114
	global_atomic_pk_add_bf16 v80, v65, s[8:9] offset:256      // 0000000069DC: DD488100 00084150
	s_mov_b64 exec, s[36:37]                                   // 0000000069E4: BEFE0124
	s_mov_b64 exec, s[22:23]                                   // 0000000069E8: BEFE0116
	global_atomic_pk_add_bf16 v82, v66, s[8:9]                 // 0000000069EC: DD488000 00084252
	s_mov_b64 exec, s[36:37]                                   // 0000000069F4: BEFE0124
	s_mov_b64 exec, s[22:23]                                   // 0000000069F8: BEFE0116
	global_atomic_pk_add_bf16 v82, v67, s[8:9] offset:256      // 0000000069FC: DD488100 00084352
	s_mov_b64 exec, s[36:37]                                   // 000000006A04: BEFE0124
	s_mov_b64 exec, s[24:25]                                   // 000000006A08: BEFE0118
	global_atomic_pk_add_bf16 v84, v68, s[8:9]                 // 000000006A0C: DD488000 00084454
	s_mov_b64 exec, s[36:37]                                   // 000000006A14: BEFE0124
	s_mov_b64 exec, s[24:25]                                   // 000000006A18: BEFE0118
	global_atomic_pk_add_bf16 v84, v69, s[8:9] offset:256      // 000000006A1C: DD488100 00084554
	s_mov_b64 exec, s[36:37]                                   // 000000006A24: BEFE0124
	s_mov_b64 exec, s[26:27]                                   // 000000006A28: BEFE011A
	global_atomic_pk_add_bf16 v86, v70, s[8:9]                 // 000000006A2C: DD488000 00084656
	s_mov_b64 exec, s[36:37]                                   // 000000006A34: BEFE0124
	s_mov_b64 exec, s[26:27]                                   // 000000006A38: BEFE011A
	global_atomic_pk_add_bf16 v86, v71, s[8:9] offset:256      // 000000006A3C: DD488100 00084756
	s_mov_b64 exec, s[36:37]                                   // 000000006A44: BEFE0124
	s_mov_b64 exec, s[28:29]                                   // 000000006A48: BEFE011C
	global_atomic_pk_add_bf16 v88, v72, s[8:9]                 // 000000006A4C: DD488000 00084858
	s_mov_b64 exec, s[36:37]                                   // 000000006A54: BEFE0124
	s_mov_b64 exec, s[28:29]                                   // 000000006A58: BEFE011C
	global_atomic_pk_add_bf16 v88, v73, s[8:9] offset:256      // 000000006A5C: DD488100 00084958
	s_mov_b64 exec, s[36:37]                                   // 000000006A64: BEFE0124
	s_mov_b64 exec, s[30:31]                                   // 000000006A68: BEFE011E
	global_atomic_pk_add_bf16 v90, v74, s[8:9]                 // 000000006A6C: DD488000 00084A5A
	s_mov_b64 exec, s[36:37]                                   // 000000006A74: BEFE0124
	s_mov_b64 exec, s[30:31]                                   // 000000006A78: BEFE011E
	global_atomic_pk_add_bf16 v90, v75, s[8:9] offset:256      // 000000006A7C: DD488100 00084B5A
	s_mov_b64 exec, s[36:37]                                   // 000000006A84: BEFE0124
	s_mov_b64 exec, s[32:33]                                   // 000000006A88: BEFE0120
	global_atomic_pk_add_bf16 v92, v76, s[8:9]                 // 000000006A8C: DD488000 00084C5C
	s_mov_b64 exec, s[36:37]                                   // 000000006A94: BEFE0124
	s_mov_b64 exec, s[32:33]                                   // 000000006A98: BEFE0120
	global_atomic_pk_add_bf16 v92, v77, s[8:9] offset:256      // 000000006A9C: DD488100 00084D5C
	s_mov_b64 exec, s[36:37]                                   // 000000006AA4: BEFE0124
	s_mov_b64 exec, s[34:35]                                   // 000000006AA8: BEFE0122
	global_atomic_pk_add_bf16 v94, v78, s[8:9]                 // 000000006AAC: DD488000 00084E5E
	s_mov_b64 exec, s[36:37]                                   // 000000006AB4: BEFE0124
	s_mov_b64 exec, s[34:35]                                   // 000000006AB8: BEFE0122
	global_atomic_pk_add_bf16 v94, v79, s[8:9] offset:256      // 000000006ABC: DD488100 00084F5E
	s_mov_b64 exec, s[36:37]                                   // 000000006AC4: BEFE0124
	s_add_u32 s8, s59, s8                                      // 000000006AC8: 8008083B
	s_addc_u32 s9, 0, s9                                       // 000000006ACC: 82090980
	s_addk_i32 s80, 0x100                                      // 000000006AD0: B7500100
	s_cmp_lt_i32 s80, s81                                      // 000000006AD4: BF045150
	s_cbranch_scc0 label_0FF8                                  // 000000006AD8: BF840001
	s_branch label_0AC3                                        // 000000006ADC: BF82FACB

0000000000006ae0 <label_0FF8>:
	s_nop 0                                                    // 000000006AE0: BF800000
	s_nop 0                                                    // 000000006AE4: BF800000
	s_branch label_1D96                                        // 000000006AE8: BF820D9B

0000000000006aec <label_0FFB>:
	s_waitcnt vmcnt(12) lgkmcnt(0)                             // 000000006AEC: BF8C007C
	s_barrier                                                  // 000000006AF0: BF8A0000
	v_mfma_f32_16x16x32_fp8_fp8 v[128:131], a[0:1], v[168:169], v[128:131]// 000000006AF4: D3F30080 0E035100
	buffer_load_dwordx4 a[80:83], v34, s[92:95], 0 offen       // 000000006AFC: E05C1000 80975022
	v_mfma_f32_16x16x32_fp8_fp8 v[128:131], a[2:3], v[170:171], v[128:131]// 000000006B04: D3F30080 0E035502
	v_mfma_f32_16x16x32_fp8_fp8 v[128:131], a[4:5], v[172:173], v[128:131]// 000000006B0C: D3F30080 0E035904
	buffer_load_dword v26, s[20:23], 0 offen lds               // 000000006B14: E0511000 8005001A
	s_add_u32 m0, 0x100, s51                                   // 000000006B1C: 807C33FF 00000100
	v_mfma_f32_16x16x32_fp8_fp8 v[128:131], a[6:7], v[174:175], v[128:131]// 000000006B24: D3F30080 0E035D06
	v_mfma_f32_16x16x32_fp8_fp8 v[128:131], a[8:9], v[176:177], v[128:131]// 000000006B2C: D3F30080 0E036108
	buffer_load_dwordx4 a[84:87], v34, s[92:95], 0 offen offset:1024// 000000006B34: E05C1400 80975422
	v_mfma_f32_16x16x32_fp8_fp8 v[128:131], a[10:11], v[178:179], v[128:131]// 000000006B3C: D3F30080 0E03650A
	v_mfma_f32_16x16x32_fp8_fp8 v[128:131], a[12:13], v[180:181], v[128:131]// 000000006B44: D3F30080 0E03690C
	buffer_load_dword v27, s[20:23], 0 offen lds               // 000000006B4C: E0511000 8005001B
	s_add_u32 m0, 0x200, s51                                   // 000000006B54: 807C33FF 00000200
	v_mfma_f32_16x16x32_fp8_fp8 v[128:131], a[14:15], v[182:183], v[128:131]// 000000006B5C: D3F30080 0E036D0E
	v_mfma_f32_16x16x32_fp8_fp8 v[132:135], a[0:1], v[184:185], v[132:135]// 000000006B64: D3F30084 0E137100
	buffer_load_dwordx4 a[88:91], v34, s[92:95], 0 offen offset:2048// 000000006B6C: E05C1800 80975822
	v_mfma_f32_16x16x32_fp8_fp8 v[132:135], a[2:3], v[186:187], v[132:135]// 000000006B74: D3F30084 0E137502
	v_mfma_f32_16x16x32_fp8_fp8 v[132:135], a[4:5], v[188:189], v[132:135]// 000000006B7C: D3F30084 0E137904
	buffer_load_dword v28, s[20:23], 0 offen lds               // 000000006B84: E0511000 8005001C
	s_add_u32 m0, 0x300, s51                                   // 000000006B8C: 807C33FF 00000300
	v_mfma_f32_16x16x32_fp8_fp8 v[132:135], a[6:7], v[190:191], v[132:135]// 000000006B94: D3F30084 0E137D06
	v_mfma_f32_16x16x32_fp8_fp8 v[132:135], a[8:9], v[192:193], v[132:135]// 000000006B9C: D3F30084 0E138108
	buffer_load_dwordx4 a[92:95], v34, s[92:95], 0 offen offset:3072// 000000006BA4: E05C1C00 80975C22
	v_mfma_f32_16x16x32_fp8_fp8 v[132:135], a[10:11], v[194:195], v[132:135]// 000000006BAC: D3F30084 0E13850A
	v_mfma_f32_16x16x32_fp8_fp8 v[132:135], a[12:13], v[196:197], v[132:135]// 000000006BB4: D3F30084 0E13890C
	buffer_load_dword v29, s[20:23], 0 offen lds               // 000000006BBC: E0511000 8005001D
	s_add_u32 m0, 0x400, s51                                   // 000000006BC4: 807C33FF 00000400
	v_mfma_f32_16x16x32_fp8_fp8 v[132:135], a[14:15], v[198:199], v[132:135]// 000000006BCC: D3F30084 0E138D0E
	v_mfma_f32_16x16x32_fp8_fp8 v[136:139], a[16:17], v[168:169], v[136:139]// 000000006BD4: D3F30088 0E235110
	buffer_load_dwordx4 a[96:99], v35, s[92:95], 0 offen       // 000000006BDC: E05C1000 80976023
	v_mfma_f32_16x16x32_fp8_fp8 v[136:139], a[18:19], v[170:171], v[136:139]// 000000006BE4: D3F30088 0E235512
	v_mfma_f32_16x16x32_fp8_fp8 v[136:139], a[20:21], v[172:173], v[136:139]// 000000006BEC: D3F30088 0E235914
	buffer_load_dword v30, s[20:23], 0 offen lds               // 000000006BF4: E0511000 8005001E
	s_add_u32 m0, 0x500, s51                                   // 000000006BFC: 807C33FF 00000500
	v_mfma_f32_16x16x32_fp8_fp8 v[136:139], a[22:23], v[174:175], v[136:139]// 000000006C04: D3F30088 0E235D16
	v_mfma_f32_16x16x32_fp8_fp8 v[136:139], a[24:25], v[176:177], v[136:139]// 000000006C0C: D3F30088 0E236118
	buffer_load_dwordx4 a[100:103], v35, s[92:95], 0 offen offset:1024// 000000006C14: E05C1400 80976423
	v_mfma_f32_16x16x32_fp8_fp8 v[136:139], a[26:27], v[178:179], v[136:139]// 000000006C1C: D3F30088 0E23651A
	v_mfma_f32_16x16x32_fp8_fp8 v[136:139], a[28:29], v[180:181], v[136:139]// 000000006C24: D3F30088 0E23691C
	buffer_load_dword v31, s[20:23], 0 offen lds               // 000000006C2C: E0511000 8005001F
	s_add_u32 m0, 0x600, s51                                   // 000000006C34: 807C33FF 00000600
	v_mfma_f32_16x16x32_fp8_fp8 v[136:139], a[30:31], v[182:183], v[136:139]// 000000006C3C: D3F30088 0E236D1E
	v_mfma_f32_16x16x32_fp8_fp8 v[140:143], a[16:17], v[184:185], v[140:143]// 000000006C44: D3F3008C 0E337110
	buffer_load_dwordx4 a[104:107], v35, s[92:95], 0 offen offset:2048// 000000006C4C: E05C1800 80976823
	v_mfma_f32_16x16x32_fp8_fp8 v[140:143], a[18:19], v[186:187], v[140:143]// 000000006C54: D3F3008C 0E337512
	v_mfma_f32_16x16x32_fp8_fp8 v[140:143], a[20:21], v[188:189], v[140:143]// 000000006C5C: D3F3008C 0E337914
	buffer_load_dword v32, s[20:23], 0 offen lds               // 000000006C64: E0511000 80050020
	s_add_u32 m0, 0x700, s51                                   // 000000006C6C: 807C33FF 00000700
	v_mfma_f32_16x16x32_fp8_fp8 v[140:143], a[22:23], v[190:191], v[140:143]// 000000006C74: D3F3008C 0E337D16
	v_mfma_f32_16x16x32_fp8_fp8 v[140:143], a[24:25], v[192:193], v[140:143]// 000000006C7C: D3F3008C 0E338118
	buffer_load_dwordx4 a[108:111], v35, s[92:95], 0 offen offset:3072// 000000006C84: E05C1C00 80976C23
	v_mfma_f32_16x16x32_fp8_fp8 v[140:143], a[26:27], v[194:195], v[140:143]// 000000006C8C: D3F3008C 0E33851A
	v_mfma_f32_16x16x32_fp8_fp8 v[140:143], a[28:29], v[196:197], v[140:143]// 000000006C94: D3F3008C 0E33891C
	buffer_load_dword v33, s[20:23], 0 offen lds               // 000000006C9C: E0511000 80050021
	s_add_u32 m0, 0, s50                                       // 000000006CA4: 807C3280
	v_mfma_f32_16x16x32_fp8_fp8 v[140:143], a[30:31], v[198:199], v[140:143]// 000000006CA8: D3F3008C 0E338D1E
	s_waitcnt vmcnt(24)                                        // 000000006CB0: BF8C4F78
	v_mfma_f32_16x16x32_fp8_fp8 v[144:147], a[32:33], v[168:169], v[144:147]// 000000006CB4: D3F30090 0E435120
	buffer_load_dwordx4 a[112:115], v36, s[92:95], 0 offen     // 000000006CBC: E05C1000 80977024
	v_mfma_f32_16x16x32_fp8_fp8 v[144:147], a[34:35], v[170:171], v[144:147]// 000000006CC4: D3F30090 0E435522
	v_mfma_f32_16x16x32_fp8_fp8 v[144:147], a[36:37], v[172:173], v[144:147]// 000000006CCC: D3F30090 0E435924
	v_mfma_f32_16x16x32_fp8_fp8 v[144:147], a[38:39], v[174:175], v[144:147]// 000000006CD4: D3F30090 0E435D26
	v_mfma_f32_16x16x32_fp8_fp8 v[144:147], a[40:41], v[176:177], v[144:147]// 000000006CDC: D3F30090 0E436128
	buffer_load_dwordx4 a[116:119], v36, s[92:95], 0 offen offset:1024// 000000006CE4: E05C1400 80977424
	v_mfma_f32_16x16x32_fp8_fp8 v[144:147], a[42:43], v[178:179], v[144:147]// 000000006CEC: D3F30090 0E43652A
	v_mfma_f32_16x16x32_fp8_fp8 v[144:147], a[44:45], v[180:181], v[144:147]// 000000006CF4: D3F30090 0E43692C
	v_mfma_f32_16x16x32_fp8_fp8 v[144:147], a[46:47], v[182:183], v[144:147]// 000000006CFC: D3F30090 0E436D2E
	v_mfma_f32_16x16x32_fp8_fp8 v[148:151], a[32:33], v[184:185], v[148:151]// 000000006D04: D3F30094 0E537120
	buffer_load_dwordx4 a[120:123], v36, s[92:95], 0 offen offset:2048// 000000006D0C: E05C1800 80977824
	v_mfma_f32_16x16x32_fp8_fp8 v[148:151], a[34:35], v[186:187], v[148:151]// 000000006D14: D3F30094 0E537522
	v_mfma_f32_16x16x32_fp8_fp8 v[148:151], a[36:37], v[188:189], v[148:151]// 000000006D1C: D3F30094 0E537924
	v_mfma_f32_16x16x32_fp8_fp8 v[148:151], a[38:39], v[190:191], v[148:151]// 000000006D24: D3F30094 0E537D26
	v_mfma_f32_16x16x32_fp8_fp8 v[148:151], a[40:41], v[192:193], v[148:151]// 000000006D2C: D3F30094 0E538128
	buffer_load_dwordx4 a[124:127], v36, s[92:95], 0 offen offset:3072// 000000006D34: E05C1C00 80977C24
	v_mfma_f32_16x16x32_fp8_fp8 v[148:151], a[42:43], v[194:195], v[148:151]// 000000006D3C: D3F30094 0E53852A
	v_mfma_f32_16x16x32_fp8_fp8 v[148:151], a[44:45], v[196:197], v[148:151]// 000000006D44: D3F30094 0E53892C
	v_mfma_f32_16x16x32_fp8_fp8 v[148:151], a[46:47], v[198:199], v[148:151]// 000000006D4C: D3F30094 0E538D2E
	s_waitcnt vmcnt(24)                                        // 000000006D54: BF8C4F78
	v_mfma_f32_16x16x32_fp8_fp8 v[152:155], a[48:49], v[168:169], v[152:155]// 000000006D58: D3F30098 0E635130
	buffer_load_dwordx4 a[128:131], v37, s[92:95], 0 offen     // 000000006D60: E05C1000 80978025
	v_mfma_f32_16x16x32_fp8_fp8 v[152:155], a[50:51], v[170:171], v[152:155]// 000000006D68: D3F30098 0E635532
	v_mfma_f32_16x16x32_fp8_fp8 v[152:155], a[52:53], v[172:173], v[152:155]// 000000006D70: D3F30098 0E635934
	v_mfma_f32_16x16x32_fp8_fp8 v[152:155], a[54:55], v[174:175], v[152:155]// 000000006D78: D3F30098 0E635D36
	v_mfma_f32_16x16x32_fp8_fp8 v[152:155], a[56:57], v[176:177], v[152:155]// 000000006D80: D3F30098 0E636138
	buffer_load_dwordx4 a[132:135], v37, s[92:95], 0 offen offset:1024// 000000006D88: E05C1400 80978425
	v_mfma_f32_16x16x32_fp8_fp8 v[152:155], a[58:59], v[178:179], v[152:155]// 000000006D90: D3F30098 0E63653A
	v_mfma_f32_16x16x32_fp8_fp8 v[152:155], a[60:61], v[180:181], v[152:155]// 000000006D98: D3F30098 0E63693C
	v_mfma_f32_16x16x32_fp8_fp8 v[152:155], a[62:63], v[182:183], v[152:155]// 000000006DA0: D3F30098 0E636D3E
	v_mfma_f32_16x16x32_fp8_fp8 v[156:159], a[48:49], v[184:185], v[156:159]// 000000006DA8: D3F3009C 0E737130
	buffer_load_dwordx4 a[136:139], v37, s[92:95], 0 offen offset:2048// 000000006DB0: E05C1800 80978825
	v_mfma_f32_16x16x32_fp8_fp8 v[156:159], a[50:51], v[186:187], v[156:159]// 000000006DB8: D3F3009C 0E737532
	v_mfma_f32_16x16x32_fp8_fp8 v[156:159], a[52:53], v[188:189], v[156:159]// 000000006DC0: D3F3009C 0E737934
	v_mfma_f32_16x16x32_fp8_fp8 v[156:159], a[54:55], v[190:191], v[156:159]// 000000006DC8: D3F3009C 0E737D36
	v_mfma_f32_16x16x32_fp8_fp8 v[156:159], a[56:57], v[192:193], v[156:159]// 000000006DD0: D3F3009C 0E738138
	buffer_load_dwordx4 a[140:143], v37, s[92:95], 0 offen offset:3072// 000000006DD8: E05C1C00 80978C25
	v_mfma_f32_16x16x32_fp8_fp8 v[156:159], a[58:59], v[194:195], v[156:159]// 000000006DE0: D3F3009C 0E73853A
	v_mfma_f32_16x16x32_fp8_fp8 v[156:159], a[60:61], v[196:197], v[156:159]// 000000006DE8: D3F3009C 0E73893C
	v_mfma_f32_16x16x32_fp8_fp8 v[156:159], a[62:63], v[198:199], v[156:159]// 000000006DF0: D3F3009C 0E738D3E
	s_waitcnt vmcnt(24)                                        // 000000006DF8: BF8C4F78
	v_mfma_f32_16x16x32_fp8_fp8 v[160:163], a[64:65], v[168:169], v[160:163]// 000000006DFC: D3F300A0 0E835140
	buffer_load_dwordx4 a[144:147], v38, s[92:95], 0 offen     // 000000006E04: E05C1000 80979026
	v_mfma_f32_16x16x32_fp8_fp8 v[160:163], a[66:67], v[170:171], v[160:163]// 000000006E0C: D3F300A0 0E835542
	v_mfma_f32_16x16x32_fp8_fp8 v[160:163], a[68:69], v[172:173], v[160:163]// 000000006E14: D3F300A0 0E835944
	v_mfma_f32_16x16x32_fp8_fp8 v[160:163], a[70:71], v[174:175], v[160:163]// 000000006E1C: D3F300A0 0E835D46
	v_mfma_f32_16x16x32_fp8_fp8 v[160:163], a[72:73], v[176:177], v[160:163]// 000000006E24: D3F300A0 0E836148
	buffer_load_dwordx4 a[148:151], v38, s[92:95], 0 offen offset:1024// 000000006E2C: E05C1400 80979426
	v_mfma_f32_16x16x32_fp8_fp8 v[160:163], a[74:75], v[178:179], v[160:163]// 000000006E34: D3F300A0 0E83654A
	v_mfma_f32_16x16x32_fp8_fp8 v[160:163], a[76:77], v[180:181], v[160:163]// 000000006E3C: D3F300A0 0E83694C
	v_mfma_f32_16x16x32_fp8_fp8 v[160:163], a[78:79], v[182:183], v[160:163]// 000000006E44: D3F300A0 0E836D4E
	v_mfma_f32_16x16x32_fp8_fp8 v[164:167], a[64:65], v[184:185], v[164:167]// 000000006E4C: D3F300A4 0E937140
	buffer_load_dwordx4 a[152:155], v38, s[92:95], 0 offen offset:2048// 000000006E54: E05C1800 80979826
	v_mfma_f32_16x16x32_fp8_fp8 v[164:167], a[66:67], v[186:187], v[164:167]// 000000006E5C: D3F300A4 0E937542
	v_mfma_f32_16x16x32_fp8_fp8 v[164:167], a[68:69], v[188:189], v[164:167]// 000000006E64: D3F300A4 0E937944
	v_mfma_f32_16x16x32_fp8_fp8 v[164:167], a[70:71], v[190:191], v[164:167]// 000000006E6C: D3F300A4 0E937D46
	v_mfma_f32_16x16x32_fp8_fp8 v[164:167], a[72:73], v[192:193], v[164:167]// 000000006E74: D3F300A4 0E938148
	buffer_load_dwordx4 a[156:159], v38, s[92:95], 0 offen offset:3072// 000000006E7C: E05C1C00 80979C26
	v_mfma_f32_16x16x32_fp8_fp8 v[164:167], a[74:75], v[194:195], v[164:167]// 000000006E84: D3F300A4 0E93854A
	v_mfma_f32_16x16x32_fp8_fp8 v[164:167], a[76:77], v[196:197], v[164:167]// 000000006E8C: D3F300A4 0E93894C
	v_mfma_f32_16x16x32_fp8_fp8 v[164:167], a[78:79], v[198:199], v[164:167]// 000000006E94: D3F300A4 0E938D4E
	s_waitcnt vmcnt(12)                                        // 000000006E9C: BF8C0F7C
	s_barrier                                                  // 000000006EA0: BF8A0000
	v_mfma_f32_16x16x32_fp8_fp8 v[64:67], a[80:81], v[168:169], v[64:67]// 000000006EA4: D3F30040 0D035150
	buffer_load_dwordx4 a[0:3], v34, s[24:27], 0 offen         // 000000006EAC: E05C1000 80860022
	v_mfma_f32_16x16x32_fp8_fp8 v[64:67], a[82:83], v[170:171], v[64:67]// 000000006EB4: D3F30040 0D035552
	v_mfma_f32_16x16x32_fp8_fp8 v[64:67], a[84:85], v[172:173], v[64:67]// 000000006EBC: D3F30040 0D035954
	v_mfma_f32_16x16x32_fp8_fp8 v[64:67], a[86:87], v[174:175], v[64:67]// 000000006EC4: D3F30040 0D035D56
	v_mfma_f32_16x16x32_fp8_fp8 v[64:67], a[88:89], v[176:177], v[64:67]// 000000006ECC: D3F30040 0D036158
	buffer_load_dwordx4 a[4:7], v34, s[24:27], 0 offen offset:1024// 000000006ED4: E05C1400 80860422
	v_mfma_f32_16x16x32_fp8_fp8 v[64:67], a[90:91], v[178:179], v[64:67]// 000000006EDC: D3F30040 0D03655A
	v_mfma_f32_16x16x32_fp8_fp8 v[64:67], a[92:93], v[180:181], v[64:67]// 000000006EE4: D3F30040 0D03695C
	v_mfma_f32_16x16x32_fp8_fp8 v[64:67], a[94:95], v[182:183], v[64:67]// 000000006EEC: D3F30040 0D036D5E
	v_mfma_f32_16x16x32_fp8_fp8 v[68:71], a[80:81], v[184:185], v[68:71]// 000000006EF4: D3F30044 0D137150
	buffer_load_dwordx4 a[8:11], v34, s[24:27], 0 offen offset:2048// 000000006EFC: E05C1800 80860822
	v_mfma_f32_16x16x32_fp8_fp8 v[68:71], a[82:83], v[186:187], v[68:71]// 000000006F04: D3F30044 0D137552
	v_mfma_f32_16x16x32_fp8_fp8 v[68:71], a[84:85], v[188:189], v[68:71]// 000000006F0C: D3F30044 0D137954
	v_mfma_f32_16x16x32_fp8_fp8 v[68:71], a[86:87], v[190:191], v[68:71]// 000000006F14: D3F30044 0D137D56
	v_mfma_f32_16x16x32_fp8_fp8 v[68:71], a[88:89], v[192:193], v[68:71]// 000000006F1C: D3F30044 0D138158
	buffer_load_dwordx4 a[12:15], v34, s[24:27], 0 offen offset:3072// 000000006F24: E05C1C00 80860C22
	v_mfma_f32_16x16x32_fp8_fp8 v[68:71], a[90:91], v[194:195], v[68:71]// 000000006F2C: D3F30044 0D13855A
	v_mfma_f32_16x16x32_fp8_fp8 v[68:71], a[92:93], v[196:197], v[68:71]// 000000006F34: D3F30044 0D13895C
	v_mfma_f32_16x16x32_fp8_fp8 v[68:71], a[94:95], v[198:199], v[68:71]// 000000006F3C: D3F30044 0D138D5E
	v_mfma_f32_16x16x32_fp8_fp8 v[72:75], a[96:97], v[168:169], v[72:75]// 000000006F44: D3F30048 0D235160
	buffer_load_dwordx4 a[16:19], v35, s[24:27], 0 offen       // 000000006F4C: E05C1000 80861023
	v_mfma_f32_16x16x32_fp8_fp8 v[72:75], a[98:99], v[170:171], v[72:75]// 000000006F54: D3F30048 0D235562
	v_mfma_f32_16x16x32_fp8_fp8 v[72:75], a[100:101], v[172:173], v[72:75]// 000000006F5C: D3F30048 0D235964
	v_mfma_f32_16x16x32_fp8_fp8 v[72:75], a[102:103], v[174:175], v[72:75]// 000000006F64: D3F30048 0D235D66
	v_mfma_f32_16x16x32_fp8_fp8 v[72:75], a[104:105], v[176:177], v[72:75]// 000000006F6C: D3F30048 0D236168
	buffer_load_dwordx4 a[20:23], v35, s[24:27], 0 offen offset:1024// 000000006F74: E05C1400 80861423
	v_mfma_f32_16x16x32_fp8_fp8 v[72:75], a[106:107], v[178:179], v[72:75]// 000000006F7C: D3F30048 0D23656A
	v_mfma_f32_16x16x32_fp8_fp8 v[72:75], a[108:109], v[180:181], v[72:75]// 000000006F84: D3F30048 0D23696C
	v_mfma_f32_16x16x32_fp8_fp8 v[72:75], a[110:111], v[182:183], v[72:75]// 000000006F8C: D3F30048 0D236D6E
	v_mfma_f32_16x16x32_fp8_fp8 v[76:79], a[96:97], v[184:185], v[76:79]// 000000006F94: D3F3004C 0D337160
	buffer_load_dwordx4 a[24:27], v35, s[24:27], 0 offen offset:2048// 000000006F9C: E05C1800 80861823
	v_mfma_f32_16x16x32_fp8_fp8 v[76:79], a[98:99], v[186:187], v[76:79]// 000000006FA4: D3F3004C 0D337562
	v_mfma_f32_16x16x32_fp8_fp8 v[76:79], a[100:101], v[188:189], v[76:79]// 000000006FAC: D3F3004C 0D337964
	v_mfma_f32_16x16x32_fp8_fp8 v[76:79], a[102:103], v[190:191], v[76:79]// 000000006FB4: D3F3004C 0D337D66
	v_mfma_f32_16x16x32_fp8_fp8 v[76:79], a[104:105], v[192:193], v[76:79]// 000000006FBC: D3F3004C 0D338168
	buffer_load_dwordx4 a[28:31], v35, s[24:27], 0 offen offset:3072// 000000006FC4: E05C1C00 80861C23
	v_mfma_f32_16x16x32_fp8_fp8 v[76:79], a[106:107], v[194:195], v[76:79]// 000000006FCC: D3F3004C 0D33856A
	v_mfma_f32_16x16x32_fp8_fp8 v[76:79], a[108:109], v[196:197], v[76:79]// 000000006FD4: D3F3004C 0D33896C
	v_mfma_f32_16x16x32_fp8_fp8 v[76:79], a[110:111], v[198:199], v[76:79]// 000000006FDC: D3F3004C 0D338D6E
	s_waitcnt vmcnt(16)                                        // 000000006FE4: BF8C4F70
	v_mfma_f32_16x16x32_fp8_fp8 v[80:83], a[112:113], v[168:169], v[80:83]// 000000006FE8: D3F30050 0D435170
	buffer_load_dwordx4 a[32:35], v36, s[24:27], 0 offen       // 000000006FF0: E05C1000 80862024
	v_mfma_f32_16x16x32_fp8_fp8 v[80:83], a[114:115], v[170:171], v[80:83]// 000000006FF8: D3F30050 0D435572
	v_mfma_f32_16x16x32_fp8_fp8 v[80:83], a[116:117], v[172:173], v[80:83]// 000000007000: D3F30050 0D435974
	ds_read_b128 v[200:203], v2 offset:8320                    // 000000007008: D9FE2080 C8000002
	v_mfma_f32_16x16x32_fp8_fp8 v[80:83], a[118:119], v[174:175], v[80:83]// 000000007010: D3F30050 0D435D76
	v_mfma_f32_16x16x32_fp8_fp8 v[80:83], a[120:121], v[176:177], v[80:83]// 000000007018: D3F30050 0D436178
	buffer_load_dwordx4 a[36:39], v36, s[24:27], 0 offen offset:1024// 000000007020: E05C1400 80862424
	v_mfma_f32_16x16x32_fp8_fp8 v[80:83], a[122:123], v[178:179], v[80:83]// 000000007028: D3F30050 0D43657A
	v_mfma_f32_16x16x32_fp8_fp8 v[80:83], a[124:125], v[180:181], v[80:83]// 000000007030: D3F30050 0D43697C
	ds_read_b128 v[204:207], v2 offset:8384                    // 000000007038: D9FE20C0 CC000002
	v_mfma_f32_16x16x32_fp8_fp8 v[80:83], a[126:127], v[182:183], v[80:83]// 000000007040: D3F30050 0D436D7E
	v_mfma_f32_16x16x32_fp8_fp8 v[84:87], a[112:113], v[184:185], v[84:87]// 000000007048: D3F30054 0D537170
	buffer_load_dwordx4 a[40:43], v36, s[24:27], 0 offen offset:2048// 000000007050: E05C1800 80862824
	v_mfma_f32_16x16x32_fp8_fp8 v[84:87], a[114:115], v[186:187], v[84:87]// 000000007058: D3F30054 0D537572
	v_mfma_f32_16x16x32_fp8_fp8 v[84:87], a[116:117], v[188:189], v[84:87]// 000000007060: D3F30054 0D537974
	ds_read_b128 v[208:211], v2 offset:8448                    // 000000007068: D9FE2100 D0000002
	v_mfma_f32_16x16x32_fp8_fp8 v[84:87], a[118:119], v[190:191], v[84:87]// 000000007070: D3F30054 0D537D76
	v_mfma_f32_16x16x32_fp8_fp8 v[84:87], a[120:121], v[192:193], v[84:87]// 000000007078: D3F30054 0D538178
	buffer_load_dwordx4 a[44:47], v36, s[24:27], 0 offen offset:3072// 000000007080: E05C1C00 80862C24
	v_mfma_f32_16x16x32_fp8_fp8 v[84:87], a[122:123], v[194:195], v[84:87]// 000000007088: D3F30054 0D53857A
	v_mfma_f32_16x16x32_fp8_fp8 v[84:87], a[124:125], v[196:197], v[84:87]// 000000007090: D3F30054 0D53897C
	ds_read_b128 v[212:215], v2 offset:8512                    // 000000007098: D9FE2140 D4000002
	v_mfma_f32_16x16x32_fp8_fp8 v[84:87], a[126:127], v[198:199], v[84:87]// 0000000070A0: D3F30054 0D538D7E
	s_waitcnt vmcnt(16)                                        // 0000000070A8: BF8C4F70
	v_mfma_f32_16x16x32_fp8_fp8 v[88:91], a[128:129], v[168:169], v[88:91]// 0000000070AC: D3F30058 0D635180
	buffer_load_dwordx4 a[48:51], v37, s[24:27], 0 offen       // 0000000070B4: E05C1000 80863025
	v_mfma_f32_16x16x32_fp8_fp8 v[88:91], a[130:131], v[170:171], v[88:91]// 0000000070BC: D3F30058 0D635582
	v_mfma_f32_16x16x32_fp8_fp8 v[88:91], a[132:133], v[172:173], v[88:91]// 0000000070C4: D3F30058 0D635984
	ds_read_b128 v[216:219], v2 offset:9344                    // 0000000070CC: D9FE2480 D8000002
	v_mfma_f32_16x16x32_fp8_fp8 v[88:91], a[134:135], v[174:175], v[88:91]// 0000000070D4: D3F30058 0D635D86
	v_mfma_f32_16x16x32_fp8_fp8 v[88:91], a[136:137], v[176:177], v[88:91]// 0000000070DC: D3F30058 0D636188
	buffer_load_dwordx4 a[52:55], v37, s[24:27], 0 offen offset:1024// 0000000070E4: E05C1400 80863425
	v_mfma_f32_16x16x32_fp8_fp8 v[88:91], a[138:139], v[178:179], v[88:91]// 0000000070EC: D3F30058 0D63658A
	v_mfma_f32_16x16x32_fp8_fp8 v[88:91], a[140:141], v[180:181], v[88:91]// 0000000070F4: D3F30058 0D63698C
	ds_read_b128 v[220:223], v2 offset:9408                    // 0000000070FC: D9FE24C0 DC000002
	v_mfma_f32_16x16x32_fp8_fp8 v[88:91], a[142:143], v[182:183], v[88:91]// 000000007104: D3F30058 0D636D8E
	v_mfma_f32_16x16x32_fp8_fp8 v[92:95], a[128:129], v[184:185], v[92:95]// 00000000710C: D3F3005C 0D737180
	buffer_load_dwordx4 a[56:59], v37, s[24:27], 0 offen offset:2048// 000000007114: E05C1800 80863825
	v_mfma_f32_16x16x32_fp8_fp8 v[92:95], a[130:131], v[186:187], v[92:95]// 00000000711C: D3F3005C 0D737582
	v_mfma_f32_16x16x32_fp8_fp8 v[92:95], a[132:133], v[188:189], v[92:95]// 000000007124: D3F3005C 0D737984
	ds_read_b128 v[224:227], v2 offset:9472                    // 00000000712C: D9FE2500 E0000002
	v_mfma_f32_16x16x32_fp8_fp8 v[92:95], a[134:135], v[190:191], v[92:95]// 000000007134: D3F3005C 0D737D86
	v_mfma_f32_16x16x32_fp8_fp8 v[92:95], a[136:137], v[192:193], v[92:95]// 00000000713C: D3F3005C 0D738188
	buffer_load_dwordx4 a[60:63], v37, s[24:27], 0 offen offset:3072// 000000007144: E05C1C00 80863C25
	v_mfma_f32_16x16x32_fp8_fp8 v[92:95], a[138:139], v[194:195], v[92:95]// 00000000714C: D3F3005C 0D73858A
	v_mfma_f32_16x16x32_fp8_fp8 v[92:95], a[140:141], v[196:197], v[92:95]// 000000007154: D3F3005C 0D73898C
	ds_read_b128 v[228:231], v2 offset:9536                    // 00000000715C: D9FE2540 E4000002
	v_mfma_f32_16x16x32_fp8_fp8 v[92:95], a[142:143], v[198:199], v[92:95]// 000000007164: D3F3005C 0D738D8E
	s_waitcnt vmcnt(16)                                        // 00000000716C: BF8C4F70
	v_mfma_f32_16x16x32_fp8_fp8 v[96:99], a[144:145], v[168:169], v[96:99]// 000000007170: D3F30060 0D835190
	buffer_load_dwordx4 a[64:67], v38, s[24:27], 0 offen       // 000000007178: E05C1000 80864026
	v_mfma_f32_16x16x32_fp8_fp8 v[96:99], a[146:147], v[170:171], v[96:99]// 000000007180: D3F30060 0D835592
	v_mfma_f32_16x16x32_fp8_fp8 v[96:99], a[148:149], v[172:173], v[96:99]// 000000007188: D3F30060 0D835994
	v_mfma_f32_16x16x32_fp8_fp8 v[96:99], a[150:151], v[174:175], v[96:99]// 000000007190: D3F30060 0D835D96
	v_mfma_f32_16x16x32_fp8_fp8 v[96:99], a[152:153], v[176:177], v[96:99]// 000000007198: D3F30060 0D836198
	buffer_load_dwordx4 a[68:71], v38, s[24:27], 0 offen offset:1024// 0000000071A0: E05C1400 80864426
	v_mfma_f32_16x16x32_fp8_fp8 v[96:99], a[154:155], v[178:179], v[96:99]// 0000000071A8: D3F30060 0D83659A
	v_mfma_f32_16x16x32_fp8_fp8 v[96:99], a[156:157], v[180:181], v[96:99]// 0000000071B0: D3F30060 0D83699C
	v_mfma_f32_16x16x32_fp8_fp8 v[96:99], a[158:159], v[182:183], v[96:99]// 0000000071B8: D3F30060 0D836D9E
	v_mfma_f32_16x16x32_fp8_fp8 v[100:103], a[144:145], v[184:185], v[100:103]// 0000000071C0: D3F30064 0D937190
	buffer_load_dwordx4 a[72:75], v38, s[24:27], 0 offen offset:2048// 0000000071C8: E05C1800 80864826
	v_mfma_f32_16x16x32_fp8_fp8 v[100:103], a[146:147], v[186:187], v[100:103]// 0000000071D0: D3F30064 0D937592
	v_mfma_f32_16x16x32_fp8_fp8 v[100:103], a[148:149], v[188:189], v[100:103]// 0000000071D8: D3F30064 0D937994
	v_mfma_f32_16x16x32_fp8_fp8 v[100:103], a[150:151], v[190:191], v[100:103]// 0000000071E0: D3F30064 0D937D96
	v_mfma_f32_16x16x32_fp8_fp8 v[100:103], a[152:153], v[192:193], v[100:103]// 0000000071E8: D3F30064 0D938198
	buffer_load_dwordx4 a[76:79], v38, s[24:27], 0 offen offset:3072// 0000000071F0: E05C1C00 80864C26
	v_mfma_f32_16x16x32_fp8_fp8 v[100:103], a[154:155], v[194:195], v[100:103]// 0000000071F8: D3F30064 0D93859A
	v_mfma_f32_16x16x32_fp8_fp8 v[100:103], a[156:157], v[196:197], v[100:103]// 000000007200: D3F30064 0D93899C
	v_mfma_f32_16x16x32_fp8_fp8 v[100:103], a[158:159], v[198:199], v[100:103]// 000000007208: D3F30064 0D938D9E
	s_add_u32 s60, 0x200, s80                                  // 000000007210: 803C50FF 00000200
	s_cmp_lt_u32 s60, s81                                      // 000000007218: BF0A513C
	s_cselect_b32 s57, s57, 0                                  // 00000000721C: 85398039
	s_add_u32 s60, 0x200, s80                                  // 000000007220: 803C50FF 00000200
	s_cmp_lt_u32 s60, s81                                      // 000000007228: BF0A513C
	s_cselect_b32 s58, s58, 0                                  // 00000000722C: 853A803A
	s_add_u32 s20, s57, s20                                    // 000000007230: 80141439
	s_addc_u32 s21, 0, s21                                     // 000000007234: 82151580
	s_add_u32 s24, s58, s24                                    // 000000007238: 8018183A
	s_addc_u32 s25, 0, s25                                     // 00000000723C: 82191980
	s_add_u32 s92, s90, s92                                    // 000000007240: 805C5C5A
	s_addc_u32 s93, 0, s93                                     // 000000007244: 825D5D80
	s_addk_i32 s80, 0x100                                      // 000000007248: B7500100
	s_cmp_lt_i32 s80, s81                                      // 00000000724C: BF045150
	s_cbranch_scc0 label_13B0                                  // 000000007250: BF8401DB
	s_waitcnt vmcnt(12) lgkmcnt(0)                             // 000000007254: BF8C007C
	s_barrier                                                  // 000000007258: BF8A0000
	v_mfma_f32_16x16x32_fp8_fp8 v[128:131], a[0:1], v[200:201], v[128:131]// 00000000725C: D3F30080 0E039100
	buffer_load_dwordx4 a[80:83], v34, s[92:95], 0 offen       // 000000007264: E05C1000 80975022
	v_mfma_f32_16x16x32_fp8_fp8 v[128:131], a[2:3], v[202:203], v[128:131]// 00000000726C: D3F30080 0E039502
	v_mfma_f32_16x16x32_fp8_fp8 v[128:131], a[4:5], v[204:205], v[128:131]// 000000007274: D3F30080 0E039904
	buffer_load_dword v26, s[20:23], 0 offen lds               // 00000000727C: E0511000 8005001A
	s_add_u32 m0, 0x100, s50                                   // 000000007284: 807C32FF 00000100
	v_mfma_f32_16x16x32_fp8_fp8 v[128:131], a[6:7], v[206:207], v[128:131]// 00000000728C: D3F30080 0E039D06
	v_mfma_f32_16x16x32_fp8_fp8 v[128:131], a[8:9], v[208:209], v[128:131]// 000000007294: D3F30080 0E03A108
	buffer_load_dwordx4 a[84:87], v34, s[92:95], 0 offen offset:1024// 00000000729C: E05C1400 80975422
	v_mfma_f32_16x16x32_fp8_fp8 v[128:131], a[10:11], v[210:211], v[128:131]// 0000000072A4: D3F30080 0E03A50A
	v_mfma_f32_16x16x32_fp8_fp8 v[128:131], a[12:13], v[212:213], v[128:131]// 0000000072AC: D3F30080 0E03A90C
	buffer_load_dword v27, s[20:23], 0 offen lds               // 0000000072B4: E0511000 8005001B
	s_add_u32 m0, 0x200, s50                                   // 0000000072BC: 807C32FF 00000200
	v_mfma_f32_16x16x32_fp8_fp8 v[128:131], a[14:15], v[214:215], v[128:131]// 0000000072C4: D3F30080 0E03AD0E
	v_mfma_f32_16x16x32_fp8_fp8 v[132:135], a[0:1], v[216:217], v[132:135]// 0000000072CC: D3F30084 0E13B100
	buffer_load_dwordx4 a[88:91], v34, s[92:95], 0 offen offset:2048// 0000000072D4: E05C1800 80975822
	v_mfma_f32_16x16x32_fp8_fp8 v[132:135], a[2:3], v[218:219], v[132:135]// 0000000072DC: D3F30084 0E13B502
	v_mfma_f32_16x16x32_fp8_fp8 v[132:135], a[4:5], v[220:221], v[132:135]// 0000000072E4: D3F30084 0E13B904
	buffer_load_dword v28, s[20:23], 0 offen lds               // 0000000072EC: E0511000 8005001C
	s_add_u32 m0, 0x300, s50                                   // 0000000072F4: 807C32FF 00000300
	v_mfma_f32_16x16x32_fp8_fp8 v[132:135], a[6:7], v[222:223], v[132:135]// 0000000072FC: D3F30084 0E13BD06
	v_mfma_f32_16x16x32_fp8_fp8 v[132:135], a[8:9], v[224:225], v[132:135]// 000000007304: D3F30084 0E13C108
	buffer_load_dwordx4 a[92:95], v34, s[92:95], 0 offen offset:3072// 00000000730C: E05C1C00 80975C22
	v_mfma_f32_16x16x32_fp8_fp8 v[132:135], a[10:11], v[226:227], v[132:135]// 000000007314: D3F30084 0E13C50A
	v_mfma_f32_16x16x32_fp8_fp8 v[132:135], a[12:13], v[228:229], v[132:135]// 00000000731C: D3F30084 0E13C90C
	buffer_load_dword v29, s[20:23], 0 offen lds               // 000000007324: E0511000 8005001D
	s_add_u32 m0, 0x400, s50                                   // 00000000732C: 807C32FF 00000400
	v_mfma_f32_16x16x32_fp8_fp8 v[132:135], a[14:15], v[230:231], v[132:135]// 000000007334: D3F30084 0E13CD0E
	v_mfma_f32_16x16x32_fp8_fp8 v[136:139], a[16:17], v[200:201], v[136:139]// 00000000733C: D3F30088 0E239110
	buffer_load_dwordx4 a[96:99], v35, s[92:95], 0 offen       // 000000007344: E05C1000 80976023
	v_mfma_f32_16x16x32_fp8_fp8 v[136:139], a[18:19], v[202:203], v[136:139]// 00000000734C: D3F30088 0E239512
	v_mfma_f32_16x16x32_fp8_fp8 v[136:139], a[20:21], v[204:205], v[136:139]// 000000007354: D3F30088 0E239914
	buffer_load_dword v30, s[20:23], 0 offen lds               // 00000000735C: E0511000 8005001E
	s_add_u32 m0, 0x500, s50                                   // 000000007364: 807C32FF 00000500
	v_mfma_f32_16x16x32_fp8_fp8 v[136:139], a[22:23], v[206:207], v[136:139]// 00000000736C: D3F30088 0E239D16
	v_mfma_f32_16x16x32_fp8_fp8 v[136:139], a[24:25], v[208:209], v[136:139]// 000000007374: D3F30088 0E23A118
	buffer_load_dwordx4 a[100:103], v35, s[92:95], 0 offen offset:1024// 00000000737C: E05C1400 80976423
	v_mfma_f32_16x16x32_fp8_fp8 v[136:139], a[26:27], v[210:211], v[136:139]// 000000007384: D3F30088 0E23A51A
	v_mfma_f32_16x16x32_fp8_fp8 v[136:139], a[28:29], v[212:213], v[136:139]// 00000000738C: D3F30088 0E23A91C
	buffer_load_dword v31, s[20:23], 0 offen lds               // 000000007394: E0511000 8005001F
	s_add_u32 m0, 0x600, s50                                   // 00000000739C: 807C32FF 00000600
	v_mfma_f32_16x16x32_fp8_fp8 v[136:139], a[30:31], v[214:215], v[136:139]// 0000000073A4: D3F30088 0E23AD1E
	v_mfma_f32_16x16x32_fp8_fp8 v[140:143], a[16:17], v[216:217], v[140:143]// 0000000073AC: D3F3008C 0E33B110
	buffer_load_dwordx4 a[104:107], v35, s[92:95], 0 offen offset:2048// 0000000073B4: E05C1800 80976823
	v_mfma_f32_16x16x32_fp8_fp8 v[140:143], a[18:19], v[218:219], v[140:143]// 0000000073BC: D3F3008C 0E33B512
	v_mfma_f32_16x16x32_fp8_fp8 v[140:143], a[20:21], v[220:221], v[140:143]// 0000000073C4: D3F3008C 0E33B914
	buffer_load_dword v32, s[20:23], 0 offen lds               // 0000000073CC: E0511000 80050020
	s_add_u32 m0, 0x700, s50                                   // 0000000073D4: 807C32FF 00000700
	v_mfma_f32_16x16x32_fp8_fp8 v[140:143], a[22:23], v[222:223], v[140:143]// 0000000073DC: D3F3008C 0E33BD16
	v_mfma_f32_16x16x32_fp8_fp8 v[140:143], a[24:25], v[224:225], v[140:143]// 0000000073E4: D3F3008C 0E33C118
	buffer_load_dwordx4 a[108:111], v35, s[92:95], 0 offen offset:3072// 0000000073EC: E05C1C00 80976C23
	v_mfma_f32_16x16x32_fp8_fp8 v[140:143], a[26:27], v[226:227], v[140:143]// 0000000073F4: D3F3008C 0E33C51A
	v_mfma_f32_16x16x32_fp8_fp8 v[140:143], a[28:29], v[228:229], v[140:143]// 0000000073FC: D3F3008C 0E33C91C
	buffer_load_dword v33, s[20:23], 0 offen lds               // 000000007404: E0511000 80050021
	s_add_u32 m0, 0, s51                                       // 00000000740C: 807C3380
	v_mfma_f32_16x16x32_fp8_fp8 v[140:143], a[30:31], v[230:231], v[140:143]// 000000007410: D3F3008C 0E33CD1E
	s_waitcnt vmcnt(24)                                        // 000000007418: BF8C4F78
	v_mfma_f32_16x16x32_fp8_fp8 v[144:147], a[32:33], v[200:201], v[144:147]// 00000000741C: D3F30090 0E439120
	buffer_load_dwordx4 a[112:115], v36, s[92:95], 0 offen     // 000000007424: E05C1000 80977024
	v_mfma_f32_16x16x32_fp8_fp8 v[144:147], a[34:35], v[202:203], v[144:147]// 00000000742C: D3F30090 0E439522
	v_mfma_f32_16x16x32_fp8_fp8 v[144:147], a[36:37], v[204:205], v[144:147]// 000000007434: D3F30090 0E439924
	v_mfma_f32_16x16x32_fp8_fp8 v[144:147], a[38:39], v[206:207], v[144:147]// 00000000743C: D3F30090 0E439D26
	v_mfma_f32_16x16x32_fp8_fp8 v[144:147], a[40:41], v[208:209], v[144:147]// 000000007444: D3F30090 0E43A128
	buffer_load_dwordx4 a[116:119], v36, s[92:95], 0 offen offset:1024// 00000000744C: E05C1400 80977424
	v_mfma_f32_16x16x32_fp8_fp8 v[144:147], a[42:43], v[210:211], v[144:147]// 000000007454: D3F30090 0E43A52A
	v_mfma_f32_16x16x32_fp8_fp8 v[144:147], a[44:45], v[212:213], v[144:147]// 00000000745C: D3F30090 0E43A92C
	v_mfma_f32_16x16x32_fp8_fp8 v[144:147], a[46:47], v[214:215], v[144:147]// 000000007464: D3F30090 0E43AD2E
	v_mfma_f32_16x16x32_fp8_fp8 v[148:151], a[32:33], v[216:217], v[148:151]// 00000000746C: D3F30094 0E53B120
	buffer_load_dwordx4 a[120:123], v36, s[92:95], 0 offen offset:2048// 000000007474: E05C1800 80977824
	v_mfma_f32_16x16x32_fp8_fp8 v[148:151], a[34:35], v[218:219], v[148:151]// 00000000747C: D3F30094 0E53B522
	v_mfma_f32_16x16x32_fp8_fp8 v[148:151], a[36:37], v[220:221], v[148:151]// 000000007484: D3F30094 0E53B924
	v_mfma_f32_16x16x32_fp8_fp8 v[148:151], a[38:39], v[222:223], v[148:151]// 00000000748C: D3F30094 0E53BD26
	v_mfma_f32_16x16x32_fp8_fp8 v[148:151], a[40:41], v[224:225], v[148:151]// 000000007494: D3F30094 0E53C128
	buffer_load_dwordx4 a[124:127], v36, s[92:95], 0 offen offset:3072// 00000000749C: E05C1C00 80977C24
	v_mfma_f32_16x16x32_fp8_fp8 v[148:151], a[42:43], v[226:227], v[148:151]// 0000000074A4: D3F30094 0E53C52A
	v_mfma_f32_16x16x32_fp8_fp8 v[148:151], a[44:45], v[228:229], v[148:151]// 0000000074AC: D3F30094 0E53C92C
	v_mfma_f32_16x16x32_fp8_fp8 v[148:151], a[46:47], v[230:231], v[148:151]// 0000000074B4: D3F30094 0E53CD2E
	s_waitcnt vmcnt(24)                                        // 0000000074BC: BF8C4F78
	v_mfma_f32_16x16x32_fp8_fp8 v[152:155], a[48:49], v[200:201], v[152:155]// 0000000074C0: D3F30098 0E639130
	buffer_load_dwordx4 a[128:131], v37, s[92:95], 0 offen     // 0000000074C8: E05C1000 80978025
	v_mfma_f32_16x16x32_fp8_fp8 v[152:155], a[50:51], v[202:203], v[152:155]// 0000000074D0: D3F30098 0E639532
	v_mfma_f32_16x16x32_fp8_fp8 v[152:155], a[52:53], v[204:205], v[152:155]// 0000000074D8: D3F30098 0E639934
	v_mfma_f32_16x16x32_fp8_fp8 v[152:155], a[54:55], v[206:207], v[152:155]// 0000000074E0: D3F30098 0E639D36
	v_mfma_f32_16x16x32_fp8_fp8 v[152:155], a[56:57], v[208:209], v[152:155]// 0000000074E8: D3F30098 0E63A138
	buffer_load_dwordx4 a[132:135], v37, s[92:95], 0 offen offset:1024// 0000000074F0: E05C1400 80978425
	v_mfma_f32_16x16x32_fp8_fp8 v[152:155], a[58:59], v[210:211], v[152:155]// 0000000074F8: D3F30098 0E63A53A
	v_mfma_f32_16x16x32_fp8_fp8 v[152:155], a[60:61], v[212:213], v[152:155]// 000000007500: D3F30098 0E63A93C
	v_mfma_f32_16x16x32_fp8_fp8 v[152:155], a[62:63], v[214:215], v[152:155]// 000000007508: D3F30098 0E63AD3E
	v_mfma_f32_16x16x32_fp8_fp8 v[156:159], a[48:49], v[216:217], v[156:159]// 000000007510: D3F3009C 0E73B130
	buffer_load_dwordx4 a[136:139], v37, s[92:95], 0 offen offset:2048// 000000007518: E05C1800 80978825
	v_mfma_f32_16x16x32_fp8_fp8 v[156:159], a[50:51], v[218:219], v[156:159]// 000000007520: D3F3009C 0E73B532
	v_mfma_f32_16x16x32_fp8_fp8 v[156:159], a[52:53], v[220:221], v[156:159]// 000000007528: D3F3009C 0E73B934
	v_mfma_f32_16x16x32_fp8_fp8 v[156:159], a[54:55], v[222:223], v[156:159]// 000000007530: D3F3009C 0E73BD36
	v_mfma_f32_16x16x32_fp8_fp8 v[156:159], a[56:57], v[224:225], v[156:159]// 000000007538: D3F3009C 0E73C138
	buffer_load_dwordx4 a[140:143], v37, s[92:95], 0 offen offset:3072// 000000007540: E05C1C00 80978C25
	v_mfma_f32_16x16x32_fp8_fp8 v[156:159], a[58:59], v[226:227], v[156:159]// 000000007548: D3F3009C 0E73C53A
	v_mfma_f32_16x16x32_fp8_fp8 v[156:159], a[60:61], v[228:229], v[156:159]// 000000007550: D3F3009C 0E73C93C
	v_mfma_f32_16x16x32_fp8_fp8 v[156:159], a[62:63], v[230:231], v[156:159]// 000000007558: D3F3009C 0E73CD3E
	s_waitcnt vmcnt(24)                                        // 000000007560: BF8C4F78
	v_mfma_f32_16x16x32_fp8_fp8 v[160:163], a[64:65], v[200:201], v[160:163]// 000000007564: D3F300A0 0E839140
	buffer_load_dwordx4 a[144:147], v38, s[92:95], 0 offen     // 00000000756C: E05C1000 80979026
	v_mfma_f32_16x16x32_fp8_fp8 v[160:163], a[66:67], v[202:203], v[160:163]// 000000007574: D3F300A0 0E839542
	v_mfma_f32_16x16x32_fp8_fp8 v[160:163], a[68:69], v[204:205], v[160:163]// 00000000757C: D3F300A0 0E839944
	v_mfma_f32_16x16x32_fp8_fp8 v[160:163], a[70:71], v[206:207], v[160:163]// 000000007584: D3F300A0 0E839D46
	v_mfma_f32_16x16x32_fp8_fp8 v[160:163], a[72:73], v[208:209], v[160:163]// 00000000758C: D3F300A0 0E83A148
	buffer_load_dwordx4 a[148:151], v38, s[92:95], 0 offen offset:1024// 000000007594: E05C1400 80979426
	v_mfma_f32_16x16x32_fp8_fp8 v[160:163], a[74:75], v[210:211], v[160:163]// 00000000759C: D3F300A0 0E83A54A
	v_mfma_f32_16x16x32_fp8_fp8 v[160:163], a[76:77], v[212:213], v[160:163]// 0000000075A4: D3F300A0 0E83A94C
	v_mfma_f32_16x16x32_fp8_fp8 v[160:163], a[78:79], v[214:215], v[160:163]// 0000000075AC: D3F300A0 0E83AD4E
	v_mfma_f32_16x16x32_fp8_fp8 v[164:167], a[64:65], v[216:217], v[164:167]// 0000000075B4: D3F300A4 0E93B140
	buffer_load_dwordx4 a[152:155], v38, s[92:95], 0 offen offset:2048// 0000000075BC: E05C1800 80979826
	v_mfma_f32_16x16x32_fp8_fp8 v[164:167], a[66:67], v[218:219], v[164:167]// 0000000075C4: D3F300A4 0E93B542
	v_mfma_f32_16x16x32_fp8_fp8 v[164:167], a[68:69], v[220:221], v[164:167]// 0000000075CC: D3F300A4 0E93B944
	v_mfma_f32_16x16x32_fp8_fp8 v[164:167], a[70:71], v[222:223], v[164:167]// 0000000075D4: D3F300A4 0E93BD46
	v_mfma_f32_16x16x32_fp8_fp8 v[164:167], a[72:73], v[224:225], v[164:167]// 0000000075DC: D3F300A4 0E93C148
	buffer_load_dwordx4 a[156:159], v38, s[92:95], 0 offen offset:3072// 0000000075E4: E05C1C00 80979C26
	v_mfma_f32_16x16x32_fp8_fp8 v[164:167], a[74:75], v[226:227], v[164:167]// 0000000075EC: D3F300A4 0E93C54A
	v_mfma_f32_16x16x32_fp8_fp8 v[164:167], a[76:77], v[228:229], v[164:167]// 0000000075F4: D3F300A4 0E93C94C
	v_mfma_f32_16x16x32_fp8_fp8 v[164:167], a[78:79], v[230:231], v[164:167]// 0000000075FC: D3F300A4 0E93CD4E
	s_waitcnt vmcnt(12)                                        // 000000007604: BF8C0F7C
	s_barrier                                                  // 000000007608: BF8A0000
	v_mfma_f32_16x16x32_fp8_fp8 v[64:67], a[80:81], v[200:201], v[64:67]// 00000000760C: D3F30040 0D039150
	buffer_load_dwordx4 a[0:3], v34, s[24:27], 0 offen         // 000000007614: E05C1000 80860022
	v_mfma_f32_16x16x32_fp8_fp8 v[64:67], a[82:83], v[202:203], v[64:67]// 00000000761C: D3F30040 0D039552
	v_mfma_f32_16x16x32_fp8_fp8 v[64:67], a[84:85], v[204:205], v[64:67]// 000000007624: D3F30040 0D039954
	v_mfma_f32_16x16x32_fp8_fp8 v[64:67], a[86:87], v[206:207], v[64:67]// 00000000762C: D3F30040 0D039D56
	v_mfma_f32_16x16x32_fp8_fp8 v[64:67], a[88:89], v[208:209], v[64:67]// 000000007634: D3F30040 0D03A158
	buffer_load_dwordx4 a[4:7], v34, s[24:27], 0 offen offset:1024// 00000000763C: E05C1400 80860422
	v_mfma_f32_16x16x32_fp8_fp8 v[64:67], a[90:91], v[210:211], v[64:67]// 000000007644: D3F30040 0D03A55A
	v_mfma_f32_16x16x32_fp8_fp8 v[64:67], a[92:93], v[212:213], v[64:67]// 00000000764C: D3F30040 0D03A95C
	v_mfma_f32_16x16x32_fp8_fp8 v[64:67], a[94:95], v[214:215], v[64:67]// 000000007654: D3F30040 0D03AD5E
	v_mfma_f32_16x16x32_fp8_fp8 v[68:71], a[80:81], v[216:217], v[68:71]// 00000000765C: D3F30044 0D13B150
	buffer_load_dwordx4 a[8:11], v34, s[24:27], 0 offen offset:2048// 000000007664: E05C1800 80860822
	v_mfma_f32_16x16x32_fp8_fp8 v[68:71], a[82:83], v[218:219], v[68:71]// 00000000766C: D3F30044 0D13B552
	v_mfma_f32_16x16x32_fp8_fp8 v[68:71], a[84:85], v[220:221], v[68:71]// 000000007674: D3F30044 0D13B954
	v_mfma_f32_16x16x32_fp8_fp8 v[68:71], a[86:87], v[222:223], v[68:71]// 00000000767C: D3F30044 0D13BD56
	v_mfma_f32_16x16x32_fp8_fp8 v[68:71], a[88:89], v[224:225], v[68:71]// 000000007684: D3F30044 0D13C158
	buffer_load_dwordx4 a[12:15], v34, s[24:27], 0 offen offset:3072// 00000000768C: E05C1C00 80860C22
	v_mfma_f32_16x16x32_fp8_fp8 v[68:71], a[90:91], v[226:227], v[68:71]// 000000007694: D3F30044 0D13C55A
	v_mfma_f32_16x16x32_fp8_fp8 v[68:71], a[92:93], v[228:229], v[68:71]// 00000000769C: D3F30044 0D13C95C
	v_mfma_f32_16x16x32_fp8_fp8 v[68:71], a[94:95], v[230:231], v[68:71]// 0000000076A4: D3F30044 0D13CD5E
	v_mfma_f32_16x16x32_fp8_fp8 v[72:75], a[96:97], v[200:201], v[72:75]// 0000000076AC: D3F30048 0D239160
	buffer_load_dwordx4 a[16:19], v35, s[24:27], 0 offen       // 0000000076B4: E05C1000 80861023
	v_mfma_f32_16x16x32_fp8_fp8 v[72:75], a[98:99], v[202:203], v[72:75]// 0000000076BC: D3F30048 0D239562
	v_mfma_f32_16x16x32_fp8_fp8 v[72:75], a[100:101], v[204:205], v[72:75]// 0000000076C4: D3F30048 0D239964
	v_mfma_f32_16x16x32_fp8_fp8 v[72:75], a[102:103], v[206:207], v[72:75]// 0000000076CC: D3F30048 0D239D66
	v_mfma_f32_16x16x32_fp8_fp8 v[72:75], a[104:105], v[208:209], v[72:75]// 0000000076D4: D3F30048 0D23A168
	buffer_load_dwordx4 a[20:23], v35, s[24:27], 0 offen offset:1024// 0000000076DC: E05C1400 80861423
	v_mfma_f32_16x16x32_fp8_fp8 v[72:75], a[106:107], v[210:211], v[72:75]// 0000000076E4: D3F30048 0D23A56A
	v_mfma_f32_16x16x32_fp8_fp8 v[72:75], a[108:109], v[212:213], v[72:75]// 0000000076EC: D3F30048 0D23A96C
	v_mfma_f32_16x16x32_fp8_fp8 v[72:75], a[110:111], v[214:215], v[72:75]// 0000000076F4: D3F30048 0D23AD6E
	v_mfma_f32_16x16x32_fp8_fp8 v[76:79], a[96:97], v[216:217], v[76:79]// 0000000076FC: D3F3004C 0D33B160
	buffer_load_dwordx4 a[24:27], v35, s[24:27], 0 offen offset:2048// 000000007704: E05C1800 80861823
	v_mfma_f32_16x16x32_fp8_fp8 v[76:79], a[98:99], v[218:219], v[76:79]// 00000000770C: D3F3004C 0D33B562
	v_mfma_f32_16x16x32_fp8_fp8 v[76:79], a[100:101], v[220:221], v[76:79]// 000000007714: D3F3004C 0D33B964
	v_mfma_f32_16x16x32_fp8_fp8 v[76:79], a[102:103], v[222:223], v[76:79]// 00000000771C: D3F3004C 0D33BD66
	v_mfma_f32_16x16x32_fp8_fp8 v[76:79], a[104:105], v[224:225], v[76:79]// 000000007724: D3F3004C 0D33C168
	buffer_load_dwordx4 a[28:31], v35, s[24:27], 0 offen offset:3072// 00000000772C: E05C1C00 80861C23
	v_mfma_f32_16x16x32_fp8_fp8 v[76:79], a[106:107], v[226:227], v[76:79]// 000000007734: D3F3004C 0D33C56A
	v_mfma_f32_16x16x32_fp8_fp8 v[76:79], a[108:109], v[228:229], v[76:79]// 00000000773C: D3F3004C 0D33C96C
	v_mfma_f32_16x16x32_fp8_fp8 v[76:79], a[110:111], v[230:231], v[76:79]// 000000007744: D3F3004C 0D33CD6E
	s_waitcnt vmcnt(16)                                        // 00000000774C: BF8C4F70
	v_mfma_f32_16x16x32_fp8_fp8 v[80:83], a[112:113], v[200:201], v[80:83]// 000000007750: D3F30050 0D439170
	buffer_load_dwordx4 a[32:35], v36, s[24:27], 0 offen       // 000000007758: E05C1000 80862024
	v_mfma_f32_16x16x32_fp8_fp8 v[80:83], a[114:115], v[202:203], v[80:83]// 000000007760: D3F30050 0D439572
	v_mfma_f32_16x16x32_fp8_fp8 v[80:83], a[116:117], v[204:205], v[80:83]// 000000007768: D3F30050 0D439974
	ds_read_b128 v[168:171], v2                                // 000000007770: D9FE0000 A8000002
	v_mfma_f32_16x16x32_fp8_fp8 v[80:83], a[118:119], v[206:207], v[80:83]// 000000007778: D3F30050 0D439D76
	v_mfma_f32_16x16x32_fp8_fp8 v[80:83], a[120:121], v[208:209], v[80:83]// 000000007780: D3F30050 0D43A178
	buffer_load_dwordx4 a[36:39], v36, s[24:27], 0 offen offset:1024// 000000007788: E05C1400 80862424
	v_mfma_f32_16x16x32_fp8_fp8 v[80:83], a[122:123], v[210:211], v[80:83]// 000000007790: D3F30050 0D43A57A
	v_mfma_f32_16x16x32_fp8_fp8 v[80:83], a[124:125], v[212:213], v[80:83]// 000000007798: D3F30050 0D43A97C
	ds_read_b128 v[172:175], v2 offset:64                      // 0000000077A0: D9FE0040 AC000002
	v_mfma_f32_16x16x32_fp8_fp8 v[80:83], a[126:127], v[214:215], v[80:83]// 0000000077A8: D3F30050 0D43AD7E
	v_mfma_f32_16x16x32_fp8_fp8 v[84:87], a[112:113], v[216:217], v[84:87]// 0000000077B0: D3F30054 0D53B170
	buffer_load_dwordx4 a[40:43], v36, s[24:27], 0 offen offset:2048// 0000000077B8: E05C1800 80862824
	v_mfma_f32_16x16x32_fp8_fp8 v[84:87], a[114:115], v[218:219], v[84:87]// 0000000077C0: D3F30054 0D53B572
	v_mfma_f32_16x16x32_fp8_fp8 v[84:87], a[116:117], v[220:221], v[84:87]// 0000000077C8: D3F30054 0D53B974
	ds_read_b128 v[176:179], v2 offset:128                     // 0000000077D0: D9FE0080 B0000002
	v_mfma_f32_16x16x32_fp8_fp8 v[84:87], a[118:119], v[222:223], v[84:87]// 0000000077D8: D3F30054 0D53BD76
	v_mfma_f32_16x16x32_fp8_fp8 v[84:87], a[120:121], v[224:225], v[84:87]// 0000000077E0: D3F30054 0D53C178
	buffer_load_dwordx4 a[44:47], v36, s[24:27], 0 offen offset:3072// 0000000077E8: E05C1C00 80862C24
	v_mfma_f32_16x16x32_fp8_fp8 v[84:87], a[122:123], v[226:227], v[84:87]// 0000000077F0: D3F30054 0D53C57A
	v_mfma_f32_16x16x32_fp8_fp8 v[84:87], a[124:125], v[228:229], v[84:87]// 0000000077F8: D3F30054 0D53C97C
	ds_read_b128 v[180:183], v2 offset:192                     // 000000007800: D9FE00C0 B4000002
	v_mfma_f32_16x16x32_fp8_fp8 v[84:87], a[126:127], v[230:231], v[84:87]// 000000007808: D3F30054 0D53CD7E
	s_waitcnt vmcnt(16)                                        // 000000007810: BF8C4F70
	v_mfma_f32_16x16x32_fp8_fp8 v[88:91], a[128:129], v[200:201], v[88:91]// 000000007814: D3F30058 0D639180
	buffer_load_dwordx4 a[48:51], v37, s[24:27], 0 offen       // 00000000781C: E05C1000 80863025
	v_mfma_f32_16x16x32_fp8_fp8 v[88:91], a[130:131], v[202:203], v[88:91]// 000000007824: D3F30058 0D639582
	v_mfma_f32_16x16x32_fp8_fp8 v[88:91], a[132:133], v[204:205], v[88:91]// 00000000782C: D3F30058 0D639984
	ds_read_b128 v[184:187], v2 offset:1024                    // 000000007834: D9FE0400 B8000002
	v_mfma_f32_16x16x32_fp8_fp8 v[88:91], a[134:135], v[206:207], v[88:91]// 00000000783C: D3F30058 0D639D86
	v_mfma_f32_16x16x32_fp8_fp8 v[88:91], a[136:137], v[208:209], v[88:91]// 000000007844: D3F30058 0D63A188
	buffer_load_dwordx4 a[52:55], v37, s[24:27], 0 offen offset:1024// 00000000784C: E05C1400 80863425
	v_mfma_f32_16x16x32_fp8_fp8 v[88:91], a[138:139], v[210:211], v[88:91]// 000000007854: D3F30058 0D63A58A
	v_mfma_f32_16x16x32_fp8_fp8 v[88:91], a[140:141], v[212:213], v[88:91]// 00000000785C: D3F30058 0D63A98C
	ds_read_b128 v[188:191], v2 offset:1088                    // 000000007864: D9FE0440 BC000002
	v_mfma_f32_16x16x32_fp8_fp8 v[88:91], a[142:143], v[214:215], v[88:91]// 00000000786C: D3F30058 0D63AD8E
	v_mfma_f32_16x16x32_fp8_fp8 v[92:95], a[128:129], v[216:217], v[92:95]// 000000007874: D3F3005C 0D73B180
	buffer_load_dwordx4 a[56:59], v37, s[24:27], 0 offen offset:2048// 00000000787C: E05C1800 80863825
	v_mfma_f32_16x16x32_fp8_fp8 v[92:95], a[130:131], v[218:219], v[92:95]// 000000007884: D3F3005C 0D73B582
	v_mfma_f32_16x16x32_fp8_fp8 v[92:95], a[132:133], v[220:221], v[92:95]// 00000000788C: D3F3005C 0D73B984
	ds_read_b128 v[192:195], v2 offset:1152                    // 000000007894: D9FE0480 C0000002
	v_mfma_f32_16x16x32_fp8_fp8 v[92:95], a[134:135], v[222:223], v[92:95]// 00000000789C: D3F3005C 0D73BD86
	v_mfma_f32_16x16x32_fp8_fp8 v[92:95], a[136:137], v[224:225], v[92:95]// 0000000078A4: D3F3005C 0D73C188
	buffer_load_dwordx4 a[60:63], v37, s[24:27], 0 offen offset:3072// 0000000078AC: E05C1C00 80863C25
	v_mfma_f32_16x16x32_fp8_fp8 v[92:95], a[138:139], v[226:227], v[92:95]// 0000000078B4: D3F3005C 0D73C58A
	v_mfma_f32_16x16x32_fp8_fp8 v[92:95], a[140:141], v[228:229], v[92:95]// 0000000078BC: D3F3005C 0D73C98C
	ds_read_b128 v[196:199], v2 offset:1216                    // 0000000078C4: D9FE04C0 C4000002
	v_mfma_f32_16x16x32_fp8_fp8 v[92:95], a[142:143], v[230:231], v[92:95]// 0000000078CC: D3F3005C 0D73CD8E
	s_waitcnt vmcnt(16)                                        // 0000000078D4: BF8C4F70
	v_mfma_f32_16x16x32_fp8_fp8 v[96:99], a[144:145], v[200:201], v[96:99]// 0000000078D8: D3F30060 0D839190
	buffer_load_dwordx4 a[64:67], v38, s[24:27], 0 offen       // 0000000078E0: E05C1000 80864026
	v_mfma_f32_16x16x32_fp8_fp8 v[96:99], a[146:147], v[202:203], v[96:99]// 0000000078E8: D3F30060 0D839592
	v_mfma_f32_16x16x32_fp8_fp8 v[96:99], a[148:149], v[204:205], v[96:99]// 0000000078F0: D3F30060 0D839994
	v_mfma_f32_16x16x32_fp8_fp8 v[96:99], a[150:151], v[206:207], v[96:99]// 0000000078F8: D3F30060 0D839D96
	v_mfma_f32_16x16x32_fp8_fp8 v[96:99], a[152:153], v[208:209], v[96:99]// 000000007900: D3F30060 0D83A198
	buffer_load_dwordx4 a[68:71], v38, s[24:27], 0 offen offset:1024// 000000007908: E05C1400 80864426
	v_mfma_f32_16x16x32_fp8_fp8 v[96:99], a[154:155], v[210:211], v[96:99]// 000000007910: D3F30060 0D83A59A
	v_mfma_f32_16x16x32_fp8_fp8 v[96:99], a[156:157], v[212:213], v[96:99]// 000000007918: D3F30060 0D83A99C
	v_mfma_f32_16x16x32_fp8_fp8 v[96:99], a[158:159], v[214:215], v[96:99]// 000000007920: D3F30060 0D83AD9E
	v_mfma_f32_16x16x32_fp8_fp8 v[100:103], a[144:145], v[216:217], v[100:103]// 000000007928: D3F30064 0D93B190
	buffer_load_dwordx4 a[72:75], v38, s[24:27], 0 offen offset:2048// 000000007930: E05C1800 80864826
	v_mfma_f32_16x16x32_fp8_fp8 v[100:103], a[146:147], v[218:219], v[100:103]// 000000007938: D3F30064 0D93B592
	v_mfma_f32_16x16x32_fp8_fp8 v[100:103], a[148:149], v[220:221], v[100:103]// 000000007940: D3F30064 0D93B994
	v_mfma_f32_16x16x32_fp8_fp8 v[100:103], a[150:151], v[222:223], v[100:103]// 000000007948: D3F30064 0D93BD96
	v_mfma_f32_16x16x32_fp8_fp8 v[100:103], a[152:153], v[224:225], v[100:103]// 000000007950: D3F30064 0D93C198
	buffer_load_dwordx4 a[76:79], v38, s[24:27], 0 offen offset:3072// 000000007958: E05C1C00 80864C26
	v_mfma_f32_16x16x32_fp8_fp8 v[100:103], a[154:155], v[226:227], v[100:103]// 000000007960: D3F30064 0D93C59A
	v_mfma_f32_16x16x32_fp8_fp8 v[100:103], a[156:157], v[228:229], v[100:103]// 000000007968: D3F30064 0D93C99C
	v_mfma_f32_16x16x32_fp8_fp8 v[100:103], a[158:159], v[230:231], v[100:103]// 000000007970: D3F30064 0D93CD9E
	s_add_u32 s60, 0x200, s80                                  // 000000007978: 803C50FF 00000200
	s_cmp_lt_u32 s60, s81                                      // 000000007980: BF0A513C
	s_cselect_b32 s57, s57, 0                                  // 000000007984: 85398039
	s_add_u32 s60, 0x200, s80                                  // 000000007988: 803C50FF 00000200
	s_cmp_lt_u32 s60, s81                                      // 000000007990: BF0A513C
	s_cselect_b32 s58, s58, 0                                  // 000000007994: 853A803A
	s_add_u32 s20, s57, s20                                    // 000000007998: 80141439
	s_addc_u32 s21, 0, s21                                     // 00000000799C: 82151580
	s_add_u32 s24, s58, s24                                    // 0000000079A0: 8018183A
	s_addc_u32 s25, 0, s25                                     // 0000000079A4: 82191980
	s_add_u32 s92, s90, s92                                    // 0000000079A8: 805C5C5A
	s_addc_u32 s93, 0, s93                                     // 0000000079AC: 825D5D80
	s_addk_i32 s80, 0x100                                      // 0000000079B0: B7500100
	s_cmp_lt_i32 s80, s81                                      // 0000000079B4: BF045150
	s_cbranch_scc0 label_13B0                                  // 0000000079B8: BF840001
	s_branch label_0FFB                                        // 0000000079BC: BF82FC4B

00000000000079c0 <label_13B0>:
	s_mov_b32 s36, -1                                          // 0000000079C0: BEA400C1
	s_mov_b32 s37, -1                                          // 0000000079C4: BEA500C1
	s_mov_b64 s[60:61], 0                                      // 0000000079C8: BEBC0180
	s_cmp_lt_u32 s82, s66                                      // 0000000079CC: BF0A4252
	s_cselect_b64 s[20:21], s[36:37], s[60:61]                 // 0000000079D0: 85943C24
	s_cmp_lt_u32 s83, s66                                      // 0000000079D4: BF0A4253
	s_cselect_b64 s[22:23], s[36:37], s[60:61]                 // 0000000079D8: 85963C24
	s_cmp_lt_u32 s84, s66                                      // 0000000079DC: BF0A4254
	s_cselect_b64 s[24:25], s[36:37], s[60:61]                 // 0000000079E0: 85983C24
	s_cmp_lt_u32 s85, s66                                      // 0000000079E4: BF0A4255
	s_cselect_b64 s[26:27], s[36:37], s[60:61]                 // 0000000079E8: 859A3C24
	s_cmp_lt_u32 s86, s66                                      // 0000000079EC: BF0A4256
	s_cselect_b64 s[28:29], s[36:37], s[60:61]                 // 0000000079F0: 859C3C24
	s_cmp_lt_u32 s87, s66                                      // 0000000079F4: BF0A4257
	s_cselect_b64 s[30:31], s[36:37], s[60:61]                 // 0000000079F8: 859E3C24
	s_cmp_lt_u32 s88, s66                                      // 0000000079FC: BF0A4258
	s_cselect_b64 s[32:33], s[36:37], s[60:61]                 // 000000007A00: 85A03C24
	s_cmp_lt_u32 s89, s66                                      // 000000007A04: BF0A4259
	s_cselect_b64 s[34:35], s[36:37], s[60:61]                 // 000000007A08: 85A23C24
	v_mul_f32_e32 v128, v14, v128                              // 000000007A0C: 0B01010E
	v_mul_f32_e32 v128, v20, v128                              // 000000007A10: 0B010114
	v_mul_f32_e32 v129, v14, v129                              // 000000007A14: 0B03030E
	v_mul_f32_e32 v129, v20, v129                              // 000000007A18: 0B030314
	v_mul_f32_e32 v130, v14, v130                              // 000000007A1C: 0B05050E
	v_mul_f32_e32 v130, v20, v130                              // 000000007A20: 0B050514
	v_mul_f32_e32 v131, v14, v131                              // 000000007A24: 0B07070E
	v_mul_f32_e32 v131, v20, v131                              // 000000007A28: 0B070714
	v_mul_f32_dpp v128, v16, v128 row_newbcast:0 row_mask:0xf bank_mask:0xf// 000000007A2C: 0B0100FA FF015010
	v_mul_f32_dpp v129, v16, v129 row_newbcast:1 row_mask:0xf bank_mask:0xf// 000000007A34: 0B0302FA FF015110
	v_mul_f32_dpp v130, v16, v130 row_newbcast:2 row_mask:0xf bank_mask:0xf// 000000007A3C: 0B0504FA FF015210
	v_mul_f32_dpp v131, v16, v131 row_newbcast:3 row_mask:0xf bank_mask:0xf// 000000007A44: 0B0706FA FF015310
	v_mul_f32_e32 v132, v15, v132                              // 000000007A4C: 0B09090F
	v_mul_f32_e32 v132, v21, v132                              // 000000007A50: 0B090915
	v_mul_f32_e32 v133, v15, v133                              // 000000007A54: 0B0B0B0F
	v_mul_f32_e32 v133, v21, v133                              // 000000007A58: 0B0B0B15
	v_mul_f32_e32 v134, v15, v134                              // 000000007A5C: 0B0D0D0F
	v_mul_f32_e32 v134, v21, v134                              // 000000007A60: 0B0D0D15
	v_mul_f32_e32 v135, v15, v135                              // 000000007A64: 0B0F0F0F
	v_mul_f32_e32 v135, v21, v135                              // 000000007A68: 0B0F0F15
	v_mul_f32_dpp v132, v16, v132 row_newbcast:0 row_mask:0xf bank_mask:0xf// 000000007A6C: 0B0908FA FF015010
	v_mul_f32_dpp v133, v16, v133 row_newbcast:1 row_mask:0xf bank_mask:0xf// 000000007A74: 0B0B0AFA FF015110
	v_mul_f32_dpp v134, v16, v134 row_newbcast:2 row_mask:0xf bank_mask:0xf// 000000007A7C: 0B0D0CFA FF015210
	v_mul_f32_dpp v135, v16, v135 row_newbcast:3 row_mask:0xf bank_mask:0xf// 000000007A84: 0B0F0EFA FF015310
	v_mul_f32_e32 v136, v14, v136                              // 000000007A8C: 0B11110E
	v_mul_f32_e32 v136, v20, v136                              // 000000007A90: 0B111114
	v_mul_f32_e32 v137, v14, v137                              // 000000007A94: 0B13130E
	v_mul_f32_e32 v137, v20, v137                              // 000000007A98: 0B131314
	v_mul_f32_e32 v138, v14, v138                              // 000000007A9C: 0B15150E
	v_mul_f32_e32 v138, v20, v138                              // 000000007AA0: 0B151514
	v_mul_f32_e32 v139, v14, v139                              // 000000007AA4: 0B17170E
	v_mul_f32_e32 v139, v20, v139                              // 000000007AA8: 0B171714
	v_mul_f32_dpp v136, v16, v136 row_newbcast:4 row_mask:0xf bank_mask:0xf// 000000007AAC: 0B1110FA FF015410
	v_mul_f32_dpp v137, v16, v137 row_newbcast:5 row_mask:0xf bank_mask:0xf// 000000007AB4: 0B1312FA FF015510
	v_mul_f32_dpp v138, v16, v138 row_newbcast:6 row_mask:0xf bank_mask:0xf// 000000007ABC: 0B1514FA FF015610
	v_mul_f32_dpp v139, v16, v139 row_newbcast:7 row_mask:0xf bank_mask:0xf// 000000007AC4: 0B1716FA FF015710
	v_mul_f32_e32 v140, v15, v140                              // 000000007ACC: 0B19190F
	v_mul_f32_e32 v140, v21, v140                              // 000000007AD0: 0B191915
	v_mul_f32_e32 v141, v15, v141                              // 000000007AD4: 0B1B1B0F
	v_mul_f32_e32 v141, v21, v141                              // 000000007AD8: 0B1B1B15
	v_mul_f32_e32 v142, v15, v142                              // 000000007ADC: 0B1D1D0F
	v_mul_f32_e32 v142, v21, v142                              // 000000007AE0: 0B1D1D15
	v_mul_f32_e32 v143, v15, v143                              // 000000007AE4: 0B1F1F0F
	v_mul_f32_e32 v143, v21, v143                              // 000000007AE8: 0B1F1F15
	v_mul_f32_dpp v140, v16, v140 row_newbcast:4 row_mask:0xf bank_mask:0xf// 000000007AEC: 0B1918FA FF015410
	v_mul_f32_dpp v141, v16, v141 row_newbcast:5 row_mask:0xf bank_mask:0xf// 000000007AF4: 0B1B1AFA FF015510
	v_mul_f32_dpp v142, v16, v142 row_newbcast:6 row_mask:0xf bank_mask:0xf// 000000007AFC: 0B1D1CFA FF015610
	v_mul_f32_dpp v143, v16, v143 row_newbcast:7 row_mask:0xf bank_mask:0xf// 000000007B04: 0B1F1EFA FF015710
	v_mul_f32_e32 v144, v14, v144                              // 000000007B0C: 0B21210E
	v_mul_f32_e32 v144, v20, v144                              // 000000007B10: 0B212114
	v_mul_f32_e32 v145, v14, v145                              // 000000007B14: 0B23230E
	v_mul_f32_e32 v145, v20, v145                              // 000000007B18: 0B232314
	v_mul_f32_e32 v146, v14, v146                              // 000000007B1C: 0B25250E
	v_mul_f32_e32 v146, v20, v146                              // 000000007B20: 0B252514
	v_mul_f32_e32 v147, v14, v147                              // 000000007B24: 0B27270E
	v_mul_f32_e32 v147, v20, v147                              // 000000007B28: 0B272714
	v_mul_f32_dpp v144, v16, v144 row_newbcast:8 row_mask:0xf bank_mask:0xf// 000000007B2C: 0B2120FA FF015810
	v_mul_f32_dpp v145, v16, v145 row_newbcast:9 row_mask:0xf bank_mask:0xf// 000000007B34: 0B2322FA FF015910
	v_mul_f32_dpp v146, v16, v146 row_newbcast:10 row_mask:0xf bank_mask:0xf// 000000007B3C: 0B2524FA FF015A10
	v_mul_f32_dpp v147, v16, v147 row_newbcast:11 row_mask:0xf bank_mask:0xf// 000000007B44: 0B2726FA FF015B10
	v_mul_f32_e32 v148, v15, v148                              // 000000007B4C: 0B29290F
	v_mul_f32_e32 v148, v21, v148                              // 000000007B50: 0B292915
	v_mul_f32_e32 v149, v15, v149                              // 000000007B54: 0B2B2B0F
	v_mul_f32_e32 v149, v21, v149                              // 000000007B58: 0B2B2B15
	v_mul_f32_e32 v150, v15, v150                              // 000000007B5C: 0B2D2D0F
	v_mul_f32_e32 v150, v21, v150                              // 000000007B60: 0B2D2D15
	v_mul_f32_e32 v151, v15, v151                              // 000000007B64: 0B2F2F0F
	v_mul_f32_e32 v151, v21, v151                              // 000000007B68: 0B2F2F15
	v_mul_f32_dpp v148, v16, v148 row_newbcast:8 row_mask:0xf bank_mask:0xf// 000000007B6C: 0B2928FA FF015810
	v_mul_f32_dpp v149, v16, v149 row_newbcast:9 row_mask:0xf bank_mask:0xf// 000000007B74: 0B2B2AFA FF015910
	v_mul_f32_dpp v150, v16, v150 row_newbcast:10 row_mask:0xf bank_mask:0xf// 000000007B7C: 0B2D2CFA FF015A10
	v_mul_f32_dpp v151, v16, v151 row_newbcast:11 row_mask:0xf bank_mask:0xf// 000000007B84: 0B2F2EFA FF015B10
	v_mul_f32_e32 v152, v14, v152                              // 000000007B8C: 0B31310E
	v_mul_f32_e32 v152, v20, v152                              // 000000007B90: 0B313114
	v_mul_f32_e32 v153, v14, v153                              // 000000007B94: 0B33330E
	v_mul_f32_e32 v153, v20, v153                              // 000000007B98: 0B333314
	v_mul_f32_e32 v154, v14, v154                              // 000000007B9C: 0B35350E
	v_mul_f32_e32 v154, v20, v154                              // 000000007BA0: 0B353514
	v_mul_f32_e32 v155, v14, v155                              // 000000007BA4: 0B37370E
	v_mul_f32_e32 v155, v20, v155                              // 000000007BA8: 0B373714
	v_mul_f32_dpp v152, v16, v152 row_newbcast:12 row_mask:0xf bank_mask:0xf// 000000007BAC: 0B3130FA FF015C10
	v_mul_f32_dpp v153, v16, v153 row_newbcast:13 row_mask:0xf bank_mask:0xf// 000000007BB4: 0B3332FA FF015D10
	v_mul_f32_dpp v154, v16, v154 row_newbcast:14 row_mask:0xf bank_mask:0xf// 000000007BBC: 0B3534FA FF015E10
	v_mul_f32_dpp v155, v16, v155 row_newbcast:15 row_mask:0xf bank_mask:0xf// 000000007BC4: 0B3736FA FF015F10
	v_mul_f32_e32 v156, v15, v156                              // 000000007BCC: 0B39390F
	v_mul_f32_e32 v156, v21, v156                              // 000000007BD0: 0B393915
	v_mul_f32_e32 v157, v15, v157                              // 000000007BD4: 0B3B3B0F
	v_mul_f32_e32 v157, v21, v157                              // 000000007BD8: 0B3B3B15
	v_mul_f32_e32 v158, v15, v158                              // 000000007BDC: 0B3D3D0F
	v_mul_f32_e32 v158, v21, v158                              // 000000007BE0: 0B3D3D15
	v_mul_f32_e32 v159, v15, v159                              // 000000007BE4: 0B3F3F0F
	v_mul_f32_e32 v159, v21, v159                              // 000000007BE8: 0B3F3F15
	v_mul_f32_dpp v156, v16, v156 row_newbcast:12 row_mask:0xf bank_mask:0xf// 000000007BEC: 0B3938FA FF015C10
	v_mul_f32_dpp v157, v16, v157 row_newbcast:13 row_mask:0xf bank_mask:0xf// 000000007BF4: 0B3B3AFA FF015D10
	v_mul_f32_dpp v158, v16, v158 row_newbcast:14 row_mask:0xf bank_mask:0xf// 000000007BFC: 0B3D3CFA FF015E10
	v_mul_f32_dpp v159, v16, v159 row_newbcast:15 row_mask:0xf bank_mask:0xf// 000000007C04: 0B3F3EFA FF015F10
	v_mul_f32_e32 v160, v14, v160                              // 000000007C0C: 0B41410E
	v_mul_f32_e32 v160, v20, v160                              // 000000007C10: 0B414114
	v_mul_f32_e32 v161, v14, v161                              // 000000007C14: 0B43430E
	v_mul_f32_e32 v161, v20, v161                              // 000000007C18: 0B434314
	v_mul_f32_e32 v162, v14, v162                              // 000000007C1C: 0B45450E
	v_mul_f32_e32 v162, v20, v162                              // 000000007C20: 0B454514
	v_mul_f32_e32 v163, v14, v163                              // 000000007C24: 0B47470E
	v_mul_f32_e32 v163, v20, v163                              // 000000007C28: 0B474714
	v_mul_f32_dpp v160, v17, v160 row_newbcast:0 row_mask:0xf bank_mask:0xf// 000000007C2C: 0B4140FA FF015011
	v_mul_f32_dpp v161, v17, v161 row_newbcast:1 row_mask:0xf bank_mask:0xf// 000000007C34: 0B4342FA FF015111
	v_mul_f32_dpp v162, v17, v162 row_newbcast:2 row_mask:0xf bank_mask:0xf// 000000007C3C: 0B4544FA FF015211
	v_mul_f32_dpp v163, v17, v163 row_newbcast:3 row_mask:0xf bank_mask:0xf// 000000007C44: 0B4746FA FF015311
	v_mul_f32_e32 v164, v15, v164                              // 000000007C4C: 0B49490F
	v_mul_f32_e32 v164, v21, v164                              // 000000007C50: 0B494915
	v_mul_f32_e32 v165, v15, v165                              // 000000007C54: 0B4B4B0F
	v_mul_f32_e32 v165, v21, v165                              // 000000007C58: 0B4B4B15
	v_mul_f32_e32 v166, v15, v166                              // 000000007C5C: 0B4D4D0F
	v_mul_f32_e32 v166, v21, v166                              // 000000007C60: 0B4D4D15
	v_mul_f32_e32 v167, v15, v167                              // 000000007C64: 0B4F4F0F
	v_mul_f32_e32 v167, v21, v167                              // 000000007C68: 0B4F4F15
	v_mul_f32_dpp v164, v17, v164 row_newbcast:0 row_mask:0xf bank_mask:0xf// 000000007C6C: 0B4948FA FF015011
	v_mul_f32_dpp v165, v17, v165 row_newbcast:1 row_mask:0xf bank_mask:0xf// 000000007C74: 0B4B4AFA FF015111
	v_mul_f32_dpp v166, v17, v166 row_newbcast:2 row_mask:0xf bank_mask:0xf// 000000007C7C: 0B4D4CFA FF015211
	v_mul_f32_dpp v167, v17, v167 row_newbcast:3 row_mask:0xf bank_mask:0xf// 000000007C84: 0B4F4EFA FF015311
	v_mul_f32_e32 v64, v14, v64                                // 000000007C8C: 0A80810E
	v_mul_f32_e32 v64, v20, v64                                // 000000007C90: 0A808114
	v_mul_f32_e32 v65, v14, v65                                // 000000007C94: 0A82830E
	v_mul_f32_e32 v65, v20, v65                                // 000000007C98: 0A828314
	v_mul_f32_e32 v66, v14, v66                                // 000000007C9C: 0A84850E
	v_mul_f32_e32 v66, v20, v66                                // 000000007CA0: 0A848514
	v_mul_f32_e32 v67, v14, v67                                // 000000007CA4: 0A86870E
	v_mul_f32_e32 v67, v20, v67                                // 000000007CA8: 0A868714
	v_mul_f32_dpp v64, v47, v64 row_newbcast:0 row_mask:0xf bank_mask:0xf// 000000007CAC: 0A8080FA FF01502F
	v_mul_f32_dpp v65, v47, v65 row_newbcast:1 row_mask:0xf bank_mask:0xf// 000000007CB4: 0A8282FA FF01512F
	v_mul_f32_dpp v66, v47, v66 row_newbcast:2 row_mask:0xf bank_mask:0xf// 000000007CBC: 0A8484FA FF01522F
	v_mul_f32_dpp v67, v47, v67 row_newbcast:3 row_mask:0xf bank_mask:0xf// 000000007CC4: 0A8686FA FF01532F
	v_mul_f32_e32 v68, v15, v68                                // 000000007CCC: 0A88890F
	v_mul_f32_e32 v68, v21, v68                                // 000000007CD0: 0A888915
	v_mul_f32_e32 v69, v15, v69                                // 000000007CD4: 0A8A8B0F
	v_mul_f32_e32 v69, v21, v69                                // 000000007CD8: 0A8A8B15
	v_mul_f32_e32 v70, v15, v70                                // 000000007CDC: 0A8C8D0F
	v_mul_f32_e32 v70, v21, v70                                // 000000007CE0: 0A8C8D15
	v_mul_f32_e32 v71, v15, v71                                // 000000007CE4: 0A8E8F0F
	v_mul_f32_e32 v71, v21, v71                                // 000000007CE8: 0A8E8F15
	v_mul_f32_dpp v68, v47, v68 row_newbcast:0 row_mask:0xf bank_mask:0xf// 000000007CEC: 0A8888FA FF01502F
	v_mul_f32_dpp v69, v47, v69 row_newbcast:1 row_mask:0xf bank_mask:0xf// 000000007CF4: 0A8A8AFA FF01512F
	v_mul_f32_dpp v70, v47, v70 row_newbcast:2 row_mask:0xf bank_mask:0xf// 000000007CFC: 0A8C8CFA FF01522F
	v_mul_f32_dpp v71, v47, v71 row_newbcast:3 row_mask:0xf bank_mask:0xf// 000000007D04: 0A8E8EFA FF01532F
	v_mul_f32_e32 v72, v14, v72                                // 000000007D0C: 0A90910E
	v_mul_f32_e32 v72, v20, v72                                // 000000007D10: 0A909114
	v_mul_f32_e32 v73, v14, v73                                // 000000007D14: 0A92930E
	v_mul_f32_e32 v73, v20, v73                                // 000000007D18: 0A929314
	v_mul_f32_e32 v74, v14, v74                                // 000000007D1C: 0A94950E
	v_mul_f32_e32 v74, v20, v74                                // 000000007D20: 0A949514
	v_mul_f32_e32 v75, v14, v75                                // 000000007D24: 0A96970E
	v_mul_f32_e32 v75, v20, v75                                // 000000007D28: 0A969714
	v_mul_f32_dpp v72, v47, v72 row_newbcast:4 row_mask:0xf bank_mask:0xf// 000000007D2C: 0A9090FA FF01542F
	v_mul_f32_dpp v73, v47, v73 row_newbcast:5 row_mask:0xf bank_mask:0xf// 000000007D34: 0A9292FA FF01552F
	v_mul_f32_dpp v74, v47, v74 row_newbcast:6 row_mask:0xf bank_mask:0xf// 000000007D3C: 0A9494FA FF01562F
	v_mul_f32_dpp v75, v47, v75 row_newbcast:7 row_mask:0xf bank_mask:0xf// 000000007D44: 0A9696FA FF01572F
	v_mul_f32_e32 v76, v15, v76                                // 000000007D4C: 0A98990F
	v_mul_f32_e32 v76, v21, v76                                // 000000007D50: 0A989915
	v_mul_f32_e32 v77, v15, v77                                // 000000007D54: 0A9A9B0F
	v_mul_f32_e32 v77, v21, v77                                // 000000007D58: 0A9A9B15
	v_mul_f32_e32 v78, v15, v78                                // 000000007D5C: 0A9C9D0F
	v_mul_f32_e32 v78, v21, v78                                // 000000007D60: 0A9C9D15
	v_mul_f32_e32 v79, v15, v79                                // 000000007D64: 0A9E9F0F
	v_mul_f32_e32 v79, v21, v79                                // 000000007D68: 0A9E9F15
	v_mul_f32_dpp v76, v47, v76 row_newbcast:4 row_mask:0xf bank_mask:0xf// 000000007D6C: 0A9898FA FF01542F
	v_mul_f32_dpp v77, v47, v77 row_newbcast:5 row_mask:0xf bank_mask:0xf// 000000007D74: 0A9A9AFA FF01552F
	v_mul_f32_dpp v78, v47, v78 row_newbcast:6 row_mask:0xf bank_mask:0xf// 000000007D7C: 0A9C9CFA FF01562F
	v_mul_f32_dpp v79, v47, v79 row_newbcast:7 row_mask:0xf bank_mask:0xf// 000000007D84: 0A9E9EFA FF01572F
	v_mul_f32_e32 v80, v14, v80                                // 000000007D8C: 0AA0A10E
	v_mul_f32_e32 v80, v20, v80                                // 000000007D90: 0AA0A114
	v_mul_f32_e32 v81, v14, v81                                // 000000007D94: 0AA2A30E
	v_mul_f32_e32 v81, v20, v81                                // 000000007D98: 0AA2A314
	v_mul_f32_e32 v82, v14, v82                                // 000000007D9C: 0AA4A50E
	v_mul_f32_e32 v82, v20, v82                                // 000000007DA0: 0AA4A514
	v_mul_f32_e32 v83, v14, v83                                // 000000007DA4: 0AA6A70E
	v_mul_f32_e32 v83, v20, v83                                // 000000007DA8: 0AA6A714
	v_mul_f32_dpp v80, v47, v80 row_newbcast:8 row_mask:0xf bank_mask:0xf// 000000007DAC: 0AA0A0FA FF01582F
	v_mul_f32_dpp v81, v47, v81 row_newbcast:9 row_mask:0xf bank_mask:0xf// 000000007DB4: 0AA2A2FA FF01592F
	v_mul_f32_dpp v82, v47, v82 row_newbcast:10 row_mask:0xf bank_mask:0xf// 000000007DBC: 0AA4A4FA FF015A2F
	v_mul_f32_dpp v83, v47, v83 row_newbcast:11 row_mask:0xf bank_mask:0xf// 000000007DC4: 0AA6A6FA FF015B2F
	v_mul_f32_e32 v84, v15, v84                                // 000000007DCC: 0AA8A90F
	v_mul_f32_e32 v84, v21, v84                                // 000000007DD0: 0AA8A915
	v_mul_f32_e32 v85, v15, v85                                // 000000007DD4: 0AAAAB0F
	v_mul_f32_e32 v85, v21, v85                                // 000000007DD8: 0AAAAB15
	v_mul_f32_e32 v86, v15, v86                                // 000000007DDC: 0AACAD0F
	v_mul_f32_e32 v86, v21, v86                                // 000000007DE0: 0AACAD15
	v_mul_f32_e32 v87, v15, v87                                // 000000007DE4: 0AAEAF0F
	v_mul_f32_e32 v87, v21, v87                                // 000000007DE8: 0AAEAF15
	v_mul_f32_dpp v84, v47, v84 row_newbcast:8 row_mask:0xf bank_mask:0xf// 000000007DEC: 0AA8A8FA FF01582F
	v_mul_f32_dpp v85, v47, v85 row_newbcast:9 row_mask:0xf bank_mask:0xf// 000000007DF4: 0AAAAAFA FF01592F
	v_mul_f32_dpp v86, v47, v86 row_newbcast:10 row_mask:0xf bank_mask:0xf// 000000007DFC: 0AACACFA FF015A2F
	v_mul_f32_dpp v87, v47, v87 row_newbcast:11 row_mask:0xf bank_mask:0xf// 000000007E04: 0AAEAEFA FF015B2F
	v_mul_f32_e32 v88, v14, v88                                // 000000007E0C: 0AB0B10E
	v_mul_f32_e32 v88, v20, v88                                // 000000007E10: 0AB0B114
	v_mul_f32_e32 v89, v14, v89                                // 000000007E14: 0AB2B30E
	v_mul_f32_e32 v89, v20, v89                                // 000000007E18: 0AB2B314
	v_mul_f32_e32 v90, v14, v90                                // 000000007E1C: 0AB4B50E
	v_mul_f32_e32 v90, v20, v90                                // 000000007E20: 0AB4B514
	v_mul_f32_e32 v91, v14, v91                                // 000000007E24: 0AB6B70E
	v_mul_f32_e32 v91, v20, v91                                // 000000007E28: 0AB6B714
	v_mul_f32_dpp v88, v47, v88 row_newbcast:12 row_mask:0xf bank_mask:0xf// 000000007E2C: 0AB0B0FA FF015C2F
	v_mul_f32_dpp v89, v47, v89 row_newbcast:13 row_mask:0xf bank_mask:0xf// 000000007E34: 0AB2B2FA FF015D2F
	v_mul_f32_dpp v90, v47, v90 row_newbcast:14 row_mask:0xf bank_mask:0xf// 000000007E3C: 0AB4B4FA FF015E2F
	v_mul_f32_dpp v91, v47, v91 row_newbcast:15 row_mask:0xf bank_mask:0xf// 000000007E44: 0AB6B6FA FF015F2F
	v_mul_f32_e32 v92, v15, v92                                // 000000007E4C: 0AB8B90F
	v_mul_f32_e32 v92, v21, v92                                // 000000007E50: 0AB8B915
	v_mul_f32_e32 v93, v15, v93                                // 000000007E54: 0ABABB0F
	v_mul_f32_e32 v93, v21, v93                                // 000000007E58: 0ABABB15
	v_mul_f32_e32 v94, v15, v94                                // 000000007E5C: 0ABCBD0F
	v_mul_f32_e32 v94, v21, v94                                // 000000007E60: 0ABCBD15
	v_mul_f32_e32 v95, v15, v95                                // 000000007E64: 0ABEBF0F
	v_mul_f32_e32 v95, v21, v95                                // 000000007E68: 0ABEBF15
	v_mul_f32_dpp v92, v47, v92 row_newbcast:12 row_mask:0xf bank_mask:0xf// 000000007E6C: 0AB8B8FA FF015C2F
	v_mul_f32_dpp v93, v47, v93 row_newbcast:13 row_mask:0xf bank_mask:0xf// 000000007E74: 0ABABAFA FF015D2F
	v_mul_f32_dpp v94, v47, v94 row_newbcast:14 row_mask:0xf bank_mask:0xf// 000000007E7C: 0ABCBCFA FF015E2F
	v_mul_f32_dpp v95, v47, v95 row_newbcast:15 row_mask:0xf bank_mask:0xf// 000000007E84: 0ABEBEFA FF015F2F
	v_mul_f32_e32 v96, v14, v96                                // 000000007E8C: 0AC0C10E
	v_mul_f32_e32 v96, v20, v96                                // 000000007E90: 0AC0C114
	v_mul_f32_e32 v97, v14, v97                                // 000000007E94: 0AC2C30E
	v_mul_f32_e32 v97, v20, v97                                // 000000007E98: 0AC2C314
	v_mul_f32_e32 v98, v14, v98                                // 000000007E9C: 0AC4C50E
	v_mul_f32_e32 v98, v20, v98                                // 000000007EA0: 0AC4C514
	v_mul_f32_e32 v99, v14, v99                                // 000000007EA4: 0AC6C70E
	v_mul_f32_e32 v99, v20, v99                                // 000000007EA8: 0AC6C714
	v_mul_f32_dpp v96, v48, v96 row_newbcast:0 row_mask:0xf bank_mask:0xf// 000000007EAC: 0AC0C0FA FF015030
	v_mul_f32_dpp v97, v48, v97 row_newbcast:1 row_mask:0xf bank_mask:0xf// 000000007EB4: 0AC2C2FA FF015130
	v_mul_f32_dpp v98, v48, v98 row_newbcast:2 row_mask:0xf bank_mask:0xf// 000000007EBC: 0AC4C4FA FF015230
	v_mul_f32_dpp v99, v48, v99 row_newbcast:3 row_mask:0xf bank_mask:0xf// 000000007EC4: 0AC6C6FA FF015330
	v_mul_f32_e32 v100, v15, v100                              // 000000007ECC: 0AC8C90F
	v_mul_f32_e32 v100, v21, v100                              // 000000007ED0: 0AC8C915
	v_mul_f32_e32 v101, v15, v101                              // 000000007ED4: 0ACACB0F
	v_mul_f32_e32 v101, v21, v101                              // 000000007ED8: 0ACACB15
	v_mul_f32_e32 v102, v15, v102                              // 000000007EDC: 0ACCCD0F
	v_mul_f32_e32 v102, v21, v102                              // 000000007EE0: 0ACCCD15
	v_mul_f32_e32 v103, v15, v103                              // 000000007EE4: 0ACECF0F
	v_mul_f32_e32 v103, v21, v103                              // 000000007EE8: 0ACECF15
	v_mul_f32_dpp v100, v48, v100 row_newbcast:0 row_mask:0xf bank_mask:0xf// 000000007EEC: 0AC8C8FA FF015030
	v_mul_f32_dpp v101, v48, v101 row_newbcast:1 row_mask:0xf bank_mask:0xf// 000000007EF4: 0ACACAFA FF015130
	v_mul_f32_dpp v102, v48, v102 row_newbcast:2 row_mask:0xf bank_mask:0xf// 000000007EFC: 0ACCCCFA FF015230
	v_mul_f32_dpp v103, v48, v103 row_newbcast:3 row_mask:0xf bank_mask:0xf// 000000007F04: 0ACECEFA FF015330
	s_waitcnt vmcnt(16)                                        // 000000007F0C: BF8C4F70
	buffer_load_dwordx4 a[0:3], v39, s[12:15], 0 offen         // 000000007F10: E05C1000 80830027
	v_mul_f32_e32 v50, v128, v128                              // 000000007F18: 0A650180
	v_mul_f32_e32 v51, v129, v129                              // 000000007F1C: 0A670381
	v_mul_f32_e32 v52, v130, v130                              // 000000007F20: 0A690582
	v_mul_f32_e32 v53, v131, v131                              // 000000007F24: 0A6B0783
	v_fma_f32 v50, v50, s77, v1                                // 000000007F28: D1CB0032 04049B32
	v_fma_f32 v51, v51, s77, v1                                // 000000007F30: D1CB0033 04049B33
	v_fma_f32 v52, v52, s77, v1                                // 000000007F38: D1CB0034 04049B34
	v_fma_f32 v53, v53, s77, v1                                // 000000007F40: D1CB0035 04049B35
	v_mul_f32_e32 v50, v50, v128                               // 000000007F48: 0A650132
	v_mul_f32_e32 v51, v51, v129                               // 000000007F4C: 0A670333
	v_mul_f32_e32 v52, v52, v130                               // 000000007F50: 0A690534
	v_mul_f32_e32 v53, v53, v131                               // 000000007F54: 0A6B0735
	v_mul_f32_e64 v50, v50, s6                                 // 000000007F58: D1050032 00000D32
	v_mul_f32_e64 v51, v51, s6                                 // 000000007F60: D1050033 00000D33
	v_mul_f32_e64 v52, v52, s6                                 // 000000007F68: D1050034 00000D34
	v_mul_f32_e64 v53, v53, s6                                 // 000000007F70: D1050035 00000D35
	v_exp_f32_e32 v50, v50                                     // 000000007F78: 7E644132
	v_exp_f32_e32 v51, v51                                     // 000000007F7C: 7E664133
	v_exp_f32_e32 v52, v52                                     // 000000007F80: 7E684134
	v_exp_f32_e32 v53, v53                                     // 000000007F84: 7E6A4135
	buffer_load_dwordx4 a[4:7], v40, s[12:15], 0 offen         // 000000007F88: E05C1000 80830428
	v_add_f32_e64 v50, v50, 1.0                                // 000000007F90: D1010032 0001E532
	v_add_f32_e64 v51, v51, 1.0                                // 000000007F98: D1010033 0001E533
	v_add_f32_e64 v52, v52, 1.0                                // 000000007FA0: D1010034 0001E534
	v_add_f32_e64 v53, v53, 1.0                                // 000000007FA8: D1010035 0001E535
	v_rcp_f32_e32 v50, v50                                     // 000000007FB0: 7E644532
	v_rcp_f32_e32 v51, v51                                     // 000000007FB4: 7E664533
	v_rcp_f32_e32 v52, v52                                     // 000000007FB8: 7E684534
	v_rcp_f32_e32 v53, v53                                     // 000000007FBC: 7E6A4535
	v_mul_f32_e32 v128, v128, v50                              // 000000007FC0: 0B006580
	v_mul_f32_e32 v129, v129, v51                              // 000000007FC4: 0B026781
	v_mul_f32_e32 v130, v130, v52                              // 000000007FC8: 0B046982
	v_mul_f32_e32 v131, v131, v53                              // 000000007FCC: 0B066B83
	v_mul_f32_e32 v128, v128, v64                              // 000000007FD0: 0B008180
	v_mul_f32_e32 v129, v129, v65                              // 000000007FD4: 0B028381
	v_mul_f32_e32 v130, v130, v66                              // 000000007FD8: 0B048582
	v_mul_f32_e32 v131, v131, v67                              // 000000007FDC: 0B068783
	buffer_load_dwordx4 a[8:11], v41, s[12:15], 0 offen        // 000000007FE0: E05C1000 80830829
	v_mul_f32_e32 v50, v132, v132                              // 000000007FE8: 0A650984
	v_mul_f32_e32 v51, v133, v133                              // 000000007FEC: 0A670B85
	v_mul_f32_e32 v52, v134, v134                              // 000000007FF0: 0A690D86
	v_mul_f32_e32 v53, v135, v135                              // 000000007FF4: 0A6B0F87
	v_fma_f32 v50, v50, s77, v1                                // 000000007FF8: D1CB0032 04049B32
	v_fma_f32 v51, v51, s77, v1                                // 000000008000: D1CB0033 04049B33
	v_fma_f32 v52, v52, s77, v1                                // 000000008008: D1CB0034 04049B34
	v_fma_f32 v53, v53, s77, v1                                // 000000008010: D1CB0035 04049B35
	v_mul_f32_e32 v50, v50, v132                               // 000000008018: 0A650932
	v_mul_f32_e32 v51, v51, v133                               // 00000000801C: 0A670B33
	v_mul_f32_e32 v52, v52, v134                               // 000000008020: 0A690D34
	v_mul_f32_e32 v53, v53, v135                               // 000000008024: 0A6B0F35
	v_mul_f32_e64 v50, v50, s6                                 // 000000008028: D1050032 00000D32
	v_mul_f32_e64 v51, v51, s6                                 // 000000008030: D1050033 00000D33
	v_mul_f32_e64 v52, v52, s6                                 // 000000008038: D1050034 00000D34
	v_mul_f32_e64 v53, v53, s6                                 // 000000008040: D1050035 00000D35
	v_exp_f32_e32 v50, v50                                     // 000000008048: 7E644132
	v_exp_f32_e32 v51, v51                                     // 00000000804C: 7E664133
	v_exp_f32_e32 v52, v52                                     // 000000008050: 7E684134
	v_exp_f32_e32 v53, v53                                     // 000000008054: 7E6A4135
	buffer_load_dwordx4 a[12:15], v42, s[12:15], 0 offen       // 000000008058: E05C1000 80830C2A
	s_add_u32 s12, s78, s12                                    // 000000008060: 800C0C4E
	s_addc_u32 s13, 0, s13                                     // 000000008064: 820D0D80
	v_add_f32_e64 v50, v50, 1.0                                // 000000008068: D1010032 0001E532
	v_add_f32_e64 v51, v51, 1.0                                // 000000008070: D1010033 0001E533
	v_add_f32_e64 v52, v52, 1.0                                // 000000008078: D1010034 0001E534
	v_add_f32_e64 v53, v53, 1.0                                // 000000008080: D1010035 0001E535
	v_rcp_f32_e32 v50, v50                                     // 000000008088: 7E644532
	v_rcp_f32_e32 v51, v51                                     // 00000000808C: 7E664533
	v_rcp_f32_e32 v52, v52                                     // 000000008090: 7E684534
	v_rcp_f32_e32 v53, v53                                     // 000000008094: 7E6A4535
	v_mul_f32_e32 v132, v132, v50                              // 000000008098: 0B086584
	v_mul_f32_e32 v133, v133, v51                              // 00000000809C: 0B0A6785
	v_mul_f32_e32 v134, v134, v52                              // 0000000080A0: 0B0C6986
	v_mul_f32_e32 v135, v135, v53                              // 0000000080A4: 0B0E6B87
	v_mul_f32_e32 v132, v132, v68                              // 0000000080A8: 0B088984
	v_mul_f32_e32 v133, v133, v69                              // 0000000080AC: 0B0A8B85
	v_mul_f32_e32 v134, v134, v70                              // 0000000080B0: 0B0C8D86
	v_mul_f32_e32 v135, v135, v71                              // 0000000080B4: 0B0E8F87
	s_waitcnt vmcnt(16)                                        // 0000000080B8: BF8C4F70
	buffer_load_dwordx4 a[16:19], v39, s[12:15], 0 offen       // 0000000080BC: E05C1000 80831027
	v_mul_f32_e32 v50, v136, v136                              // 0000000080C4: 0A651188
	v_mul_f32_e32 v51, v137, v137                              // 0000000080C8: 0A671389
	v_mul_f32_e32 v52, v138, v138                              // 0000000080CC: 0A69158A
	v_mul_f32_e32 v53, v139, v139                              // 0000000080D0: 0A6B178B
	v_fma_f32 v50, v50, s77, v1                                // 0000000080D4: D1CB0032 04049B32
	v_fma_f32 v51, v51, s77, v1                                // 0000000080DC: D1CB0033 04049B33
	v_fma_f32 v52, v52, s77, v1                                // 0000000080E4: D1CB0034 04049B34
	v_fma_f32 v53, v53, s77, v1                                // 0000000080EC: D1CB0035 04049B35
	v_mul_f32_e32 v50, v50, v136                               // 0000000080F4: 0A651132
	v_mul_f32_e32 v51, v51, v137                               // 0000000080F8: 0A671333
	v_mul_f32_e32 v52, v52, v138                               // 0000000080FC: 0A691534
	v_mul_f32_e32 v53, v53, v139                               // 000000008100: 0A6B1735
	v_mul_f32_e64 v50, v50, s6                                 // 000000008104: D1050032 00000D32
	v_mul_f32_e64 v51, v51, s6                                 // 00000000810C: D1050033 00000D33
	v_mul_f32_e64 v52, v52, s6                                 // 000000008114: D1050034 00000D34
	v_mul_f32_e64 v53, v53, s6                                 // 00000000811C: D1050035 00000D35
	v_exp_f32_e32 v50, v50                                     // 000000008124: 7E644132
	v_exp_f32_e32 v51, v51                                     // 000000008128: 7E664133
	v_exp_f32_e32 v52, v52                                     // 00000000812C: 7E684134
	v_exp_f32_e32 v53, v53                                     // 000000008130: 7E6A4135
	buffer_load_dwordx4 a[20:23], v40, s[12:15], 0 offen       // 000000008134: E05C1000 80831428
	v_add_f32_e64 v50, v50, 1.0                                // 00000000813C: D1010032 0001E532
	v_add_f32_e64 v51, v51, 1.0                                // 000000008144: D1010033 0001E533
	v_add_f32_e64 v52, v52, 1.0                                // 00000000814C: D1010034 0001E534
	v_add_f32_e64 v53, v53, 1.0                                // 000000008154: D1010035 0001E535
	v_rcp_f32_e32 v50, v50                                     // 00000000815C: 7E644532
	v_rcp_f32_e32 v51, v51                                     // 000000008160: 7E664533
	v_rcp_f32_e32 v52, v52                                     // 000000008164: 7E684534
	v_rcp_f32_e32 v53, v53                                     // 000000008168: 7E6A4535
	v_mul_f32_e32 v136, v136, v50                              // 00000000816C: 0B106588
	v_mul_f32_e32 v137, v137, v51                              // 000000008170: 0B126789
	v_mul_f32_e32 v138, v138, v52                              // 000000008174: 0B14698A
	v_mul_f32_e32 v139, v139, v53                              // 000000008178: 0B166B8B
	v_mul_f32_e32 v136, v136, v72                              // 00000000817C: 0B109188
	v_mul_f32_e32 v137, v137, v73                              // 000000008180: 0B129389
	v_mul_f32_e32 v138, v138, v74                              // 000000008184: 0B14958A
	v_mul_f32_e32 v139, v139, v75                              // 000000008188: 0B16978B
	buffer_load_dwordx4 a[24:27], v41, s[12:15], 0 offen       // 00000000818C: E05C1000 80831829
	v_mul_f32_e32 v50, v140, v140                              // 000000008194: 0A65198C
	v_mul_f32_e32 v51, v141, v141                              // 000000008198: 0A671B8D
	v_mul_f32_e32 v52, v142, v142                              // 00000000819C: 0A691D8E
	v_mul_f32_e32 v53, v143, v143                              // 0000000081A0: 0A6B1F8F
	v_fma_f32 v50, v50, s77, v1                                // 0000000081A4: D1CB0032 04049B32
	v_fma_f32 v51, v51, s77, v1                                // 0000000081AC: D1CB0033 04049B33
	v_fma_f32 v52, v52, s77, v1                                // 0000000081B4: D1CB0034 04049B34
	v_fma_f32 v53, v53, s77, v1                                // 0000000081BC: D1CB0035 04049B35
	v_mul_f32_e32 v50, v50, v140                               // 0000000081C4: 0A651932
	v_mul_f32_e32 v51, v51, v141                               // 0000000081C8: 0A671B33
	v_mul_f32_e32 v52, v52, v142                               // 0000000081CC: 0A691D34
	v_mul_f32_e32 v53, v53, v143                               // 0000000081D0: 0A6B1F35
	v_mul_f32_e64 v50, v50, s6                                 // 0000000081D4: D1050032 00000D32
	v_mul_f32_e64 v51, v51, s6                                 // 0000000081DC: D1050033 00000D33
	v_mul_f32_e64 v52, v52, s6                                 // 0000000081E4: D1050034 00000D34
	v_mul_f32_e64 v53, v53, s6                                 // 0000000081EC: D1050035 00000D35
	v_exp_f32_e32 v50, v50                                     // 0000000081F4: 7E644132
	v_exp_f32_e32 v51, v51                                     // 0000000081F8: 7E664133
	v_exp_f32_e32 v52, v52                                     // 0000000081FC: 7E684134
	v_exp_f32_e32 v53, v53                                     // 000000008200: 7E6A4135
	buffer_load_dwordx4 a[28:31], v42, s[12:15], 0 offen       // 000000008204: E05C1000 80831C2A
	s_add_u32 s12, s78, s12                                    // 00000000820C: 800C0C4E
	s_addc_u32 s13, 0, s13                                     // 000000008210: 820D0D80
	v_add_f32_e64 v50, v50, 1.0                                // 000000008214: D1010032 0001E532
	v_add_f32_e64 v51, v51, 1.0                                // 00000000821C: D1010033 0001E533
	v_add_f32_e64 v52, v52, 1.0                                // 000000008224: D1010034 0001E534
	v_add_f32_e64 v53, v53, 1.0                                // 00000000822C: D1010035 0001E535
	v_rcp_f32_e32 v50, v50                                     // 000000008234: 7E644532
	v_rcp_f32_e32 v51, v51                                     // 000000008238: 7E664533
	v_rcp_f32_e32 v52, v52                                     // 00000000823C: 7E684534
	v_rcp_f32_e32 v53, v53                                     // 000000008240: 7E6A4535
	v_mul_f32_e32 v140, v140, v50                              // 000000008244: 0B18658C
	v_mul_f32_e32 v141, v141, v51                              // 000000008248: 0B1A678D
	v_mul_f32_e32 v142, v142, v52                              // 00000000824C: 0B1C698E
	v_mul_f32_e32 v143, v143, v53                              // 000000008250: 0B1E6B8F
	v_mul_f32_e32 v140, v140, v76                              // 000000008254: 0B18998C
	v_mul_f32_e32 v141, v141, v77                              // 000000008258: 0B1A9B8D
	v_mul_f32_e32 v142, v142, v78                              // 00000000825C: 0B1C9D8E
	v_mul_f32_e32 v143, v143, v79                              // 000000008260: 0B1E9F8F
	s_waitcnt vmcnt(16)                                        // 000000008264: BF8C4F70
	buffer_load_dwordx4 a[32:35], v39, s[12:15], 0 offen       // 000000008268: E05C1000 80832027
	v_mul_f32_e32 v50, v144, v144                              // 000000008270: 0A652190
	v_mul_f32_e32 v51, v145, v145                              // 000000008274: 0A672391
	v_mul_f32_e32 v52, v146, v146                              // 000000008278: 0A692592
	v_mul_f32_e32 v53, v147, v147                              // 00000000827C: 0A6B2793
	v_fma_f32 v50, v50, s77, v1                                // 000000008280: D1CB0032 04049B32
	v_fma_f32 v51, v51, s77, v1                                // 000000008288: D1CB0033 04049B33
	v_fma_f32 v52, v52, s77, v1                                // 000000008290: D1CB0034 04049B34
	v_fma_f32 v53, v53, s77, v1                                // 000000008298: D1CB0035 04049B35
	v_mul_f32_e32 v50, v50, v144                               // 0000000082A0: 0A652132
	v_mul_f32_e32 v51, v51, v145                               // 0000000082A4: 0A672333
	v_mul_f32_e32 v52, v52, v146                               // 0000000082A8: 0A692534
	v_mul_f32_e32 v53, v53, v147                               // 0000000082AC: 0A6B2735
	v_mul_f32_e64 v50, v50, s6                                 // 0000000082B0: D1050032 00000D32
	v_mul_f32_e64 v51, v51, s6                                 // 0000000082B8: D1050033 00000D33
	v_mul_f32_e64 v52, v52, s6                                 // 0000000082C0: D1050034 00000D34
	v_mul_f32_e64 v53, v53, s6                                 // 0000000082C8: D1050035 00000D35
	v_exp_f32_e32 v50, v50                                     // 0000000082D0: 7E644132
	v_exp_f32_e32 v51, v51                                     // 0000000082D4: 7E664133
	v_exp_f32_e32 v52, v52                                     // 0000000082D8: 7E684134
	v_exp_f32_e32 v53, v53                                     // 0000000082DC: 7E6A4135
	buffer_load_dwordx4 a[36:39], v40, s[12:15], 0 offen       // 0000000082E0: E05C1000 80832428
	v_add_f32_e64 v50, v50, 1.0                                // 0000000082E8: D1010032 0001E532
	v_add_f32_e64 v51, v51, 1.0                                // 0000000082F0: D1010033 0001E533
	v_add_f32_e64 v52, v52, 1.0                                // 0000000082F8: D1010034 0001E534
	v_add_f32_e64 v53, v53, 1.0                                // 000000008300: D1010035 0001E535
	v_rcp_f32_e32 v50, v50                                     // 000000008308: 7E644532
	v_rcp_f32_e32 v51, v51                                     // 00000000830C: 7E664533
	v_rcp_f32_e32 v52, v52                                     // 000000008310: 7E684534
	v_rcp_f32_e32 v53, v53                                     // 000000008314: 7E6A4535
	v_mul_f32_e32 v144, v144, v50                              // 000000008318: 0B206590
	v_mul_f32_e32 v145, v145, v51                              // 00000000831C: 0B226791
	v_mul_f32_e32 v146, v146, v52                              // 000000008320: 0B246992
	v_mul_f32_e32 v147, v147, v53                              // 000000008324: 0B266B93
	v_mul_f32_e32 v144, v144, v80                              // 000000008328: 0B20A190
	v_mul_f32_e32 v145, v145, v81                              // 00000000832C: 0B22A391
	v_mul_f32_e32 v146, v146, v82                              // 000000008330: 0B24A592
	v_mul_f32_e32 v147, v147, v83                              // 000000008334: 0B26A793
	buffer_load_dwordx4 a[40:43], v41, s[12:15], 0 offen       // 000000008338: E05C1000 80832829
	v_mul_f32_e32 v50, v148, v148                              // 000000008340: 0A652994
	v_mul_f32_e32 v51, v149, v149                              // 000000008344: 0A672B95
	v_mul_f32_e32 v52, v150, v150                              // 000000008348: 0A692D96
	v_mul_f32_e32 v53, v151, v151                              // 00000000834C: 0A6B2F97
	v_fma_f32 v50, v50, s77, v1                                // 000000008350: D1CB0032 04049B32
	v_fma_f32 v51, v51, s77, v1                                // 000000008358: D1CB0033 04049B33
	v_fma_f32 v52, v52, s77, v1                                // 000000008360: D1CB0034 04049B34
	v_fma_f32 v53, v53, s77, v1                                // 000000008368: D1CB0035 04049B35
	v_mul_f32_e32 v50, v50, v148                               // 000000008370: 0A652932
	v_mul_f32_e32 v51, v51, v149                               // 000000008374: 0A672B33
	v_mul_f32_e32 v52, v52, v150                               // 000000008378: 0A692D34
	v_mul_f32_e32 v53, v53, v151                               // 00000000837C: 0A6B2F35
	v_mul_f32_e64 v50, v50, s6                                 // 000000008380: D1050032 00000D32
	v_mul_f32_e64 v51, v51, s6                                 // 000000008388: D1050033 00000D33
	v_mul_f32_e64 v52, v52, s6                                 // 000000008390: D1050034 00000D34
	v_mul_f32_e64 v53, v53, s6                                 // 000000008398: D1050035 00000D35
	v_exp_f32_e32 v50, v50                                     // 0000000083A0: 7E644132
	v_exp_f32_e32 v51, v51                                     // 0000000083A4: 7E664133
	v_exp_f32_e32 v52, v52                                     // 0000000083A8: 7E684134
	v_exp_f32_e32 v53, v53                                     // 0000000083AC: 7E6A4135
	buffer_load_dwordx4 a[44:47], v42, s[12:15], 0 offen       // 0000000083B0: E05C1000 80832C2A
	s_add_u32 s12, s78, s12                                    // 0000000083B8: 800C0C4E
	s_addc_u32 s13, 0, s13                                     // 0000000083BC: 820D0D80
	v_add_f32_e64 v50, v50, 1.0                                // 0000000083C0: D1010032 0001E532
	v_add_f32_e64 v51, v51, 1.0                                // 0000000083C8: D1010033 0001E533
	v_add_f32_e64 v52, v52, 1.0                                // 0000000083D0: D1010034 0001E534
	v_add_f32_e64 v53, v53, 1.0                                // 0000000083D8: D1010035 0001E535
	v_rcp_f32_e32 v50, v50                                     // 0000000083E0: 7E644532
	v_rcp_f32_e32 v51, v51                                     // 0000000083E4: 7E664533
	v_rcp_f32_e32 v52, v52                                     // 0000000083E8: 7E684534
	v_rcp_f32_e32 v53, v53                                     // 0000000083EC: 7E6A4535
	v_mul_f32_e32 v148, v148, v50                              // 0000000083F0: 0B286594
	v_mul_f32_e32 v149, v149, v51                              // 0000000083F4: 0B2A6795
	v_mul_f32_e32 v150, v150, v52                              // 0000000083F8: 0B2C6996
	v_mul_f32_e32 v151, v151, v53                              // 0000000083FC: 0B2E6B97
	v_mul_f32_e32 v148, v148, v84                              // 000000008400: 0B28A994
	v_mul_f32_e32 v149, v149, v85                              // 000000008404: 0B2AAB95
	v_mul_f32_e32 v150, v150, v86                              // 000000008408: 0B2CAD96
	v_mul_f32_e32 v151, v151, v87                              // 00000000840C: 0B2EAF97
	s_waitcnt vmcnt(16)                                        // 000000008410: BF8C4F70
	buffer_load_dwordx4 a[48:51], v39, s[12:15], 0 offen       // 000000008414: E05C1000 80833027
	v_mul_f32_e32 v50, v152, v152                              // 00000000841C: 0A653198
	v_mul_f32_e32 v51, v153, v153                              // 000000008420: 0A673399
	v_mul_f32_e32 v52, v154, v154                              // 000000008424: 0A69359A
	v_mul_f32_e32 v53, v155, v155                              // 000000008428: 0A6B379B
	v_fma_f32 v50, v50, s77, v1                                // 00000000842C: D1CB0032 04049B32
	v_fma_f32 v51, v51, s77, v1                                // 000000008434: D1CB0033 04049B33
	v_fma_f32 v52, v52, s77, v1                                // 00000000843C: D1CB0034 04049B34
	v_fma_f32 v53, v53, s77, v1                                // 000000008444: D1CB0035 04049B35
	v_mul_f32_e32 v50, v50, v152                               // 00000000844C: 0A653132
	v_mul_f32_e32 v51, v51, v153                               // 000000008450: 0A673333
	v_mul_f32_e32 v52, v52, v154                               // 000000008454: 0A693534
	v_mul_f32_e32 v53, v53, v155                               // 000000008458: 0A6B3735
	v_mul_f32_e64 v50, v50, s6                                 // 00000000845C: D1050032 00000D32
	v_mul_f32_e64 v51, v51, s6                                 // 000000008464: D1050033 00000D33
	v_mul_f32_e64 v52, v52, s6                                 // 00000000846C: D1050034 00000D34
	v_mul_f32_e64 v53, v53, s6                                 // 000000008474: D1050035 00000D35
	v_exp_f32_e32 v50, v50                                     // 00000000847C: 7E644132
	v_exp_f32_e32 v51, v51                                     // 000000008480: 7E664133
	v_exp_f32_e32 v52, v52                                     // 000000008484: 7E684134
	v_exp_f32_e32 v53, v53                                     // 000000008488: 7E6A4135
	buffer_load_dwordx4 a[52:55], v40, s[12:15], 0 offen       // 00000000848C: E05C1000 80833428
	v_add_f32_e64 v50, v50, 1.0                                // 000000008494: D1010032 0001E532
	v_add_f32_e64 v51, v51, 1.0                                // 00000000849C: D1010033 0001E533
	v_add_f32_e64 v52, v52, 1.0                                // 0000000084A4: D1010034 0001E534
	v_add_f32_e64 v53, v53, 1.0                                // 0000000084AC: D1010035 0001E535
	v_rcp_f32_e32 v50, v50                                     // 0000000084B4: 7E644532
	v_rcp_f32_e32 v51, v51                                     // 0000000084B8: 7E664533
	v_rcp_f32_e32 v52, v52                                     // 0000000084BC: 7E684534
	v_rcp_f32_e32 v53, v53                                     // 0000000084C0: 7E6A4535
	v_mul_f32_e32 v152, v152, v50                              // 0000000084C4: 0B306598
	v_mul_f32_e32 v153, v153, v51                              // 0000000084C8: 0B326799
	v_mul_f32_e32 v154, v154, v52                              // 0000000084CC: 0B34699A
	v_mul_f32_e32 v155, v155, v53                              // 0000000084D0: 0B366B9B
	v_mul_f32_e32 v152, v152, v88                              // 0000000084D4: 0B30B198
	v_mul_f32_e32 v153, v153, v89                              // 0000000084D8: 0B32B399
	v_mul_f32_e32 v154, v154, v90                              // 0000000084DC: 0B34B59A
	v_mul_f32_e32 v155, v155, v91                              // 0000000084E0: 0B36B79B
	buffer_load_dwordx4 a[56:59], v41, s[12:15], 0 offen       // 0000000084E4: E05C1000 80833829
	v_mul_f32_e32 v50, v156, v156                              // 0000000084EC: 0A65399C
	v_mul_f32_e32 v51, v157, v157                              // 0000000084F0: 0A673B9D
	v_mul_f32_e32 v52, v158, v158                              // 0000000084F4: 0A693D9E
	v_mul_f32_e32 v53, v159, v159                              // 0000000084F8: 0A6B3F9F
	v_fma_f32 v50, v50, s77, v1                                // 0000000084FC: D1CB0032 04049B32
	v_fma_f32 v51, v51, s77, v1                                // 000000008504: D1CB0033 04049B33
	v_fma_f32 v52, v52, s77, v1                                // 00000000850C: D1CB0034 04049B34
	v_fma_f32 v53, v53, s77, v1                                // 000000008514: D1CB0035 04049B35
	v_mul_f32_e32 v50, v50, v156                               // 00000000851C: 0A653932
	v_mul_f32_e32 v51, v51, v157                               // 000000008520: 0A673B33
	v_mul_f32_e32 v52, v52, v158                               // 000000008524: 0A693D34
	v_mul_f32_e32 v53, v53, v159                               // 000000008528: 0A6B3F35
	v_mul_f32_e64 v50, v50, s6                                 // 00000000852C: D1050032 00000D32
	v_mul_f32_e64 v51, v51, s6                                 // 000000008534: D1050033 00000D33
	v_mul_f32_e64 v52, v52, s6                                 // 00000000853C: D1050034 00000D34
	v_mul_f32_e64 v53, v53, s6                                 // 000000008544: D1050035 00000D35
	v_exp_f32_e32 v50, v50                                     // 00000000854C: 7E644132
	v_exp_f32_e32 v51, v51                                     // 000000008550: 7E664133
	v_exp_f32_e32 v52, v52                                     // 000000008554: 7E684134
	v_exp_f32_e32 v53, v53                                     // 000000008558: 7E6A4135
	buffer_load_dwordx4 a[60:63], v42, s[12:15], 0 offen       // 00000000855C: E05C1000 80833C2A
	s_add_u32 s12, s78, s12                                    // 000000008564: 800C0C4E
	s_addc_u32 s13, 0, s13                                     // 000000008568: 820D0D80
	v_add_f32_e64 v50, v50, 1.0                                // 00000000856C: D1010032 0001E532
	v_add_f32_e64 v51, v51, 1.0                                // 000000008574: D1010033 0001E533
	v_add_f32_e64 v52, v52, 1.0                                // 00000000857C: D1010034 0001E534
	v_add_f32_e64 v53, v53, 1.0                                // 000000008584: D1010035 0001E535
	v_rcp_f32_e32 v50, v50                                     // 00000000858C: 7E644532
	v_rcp_f32_e32 v51, v51                                     // 000000008590: 7E664533
	v_rcp_f32_e32 v52, v52                                     // 000000008594: 7E684534
	v_rcp_f32_e32 v53, v53                                     // 000000008598: 7E6A4535
	v_mul_f32_e32 v156, v156, v50                              // 00000000859C: 0B38659C
	v_mul_f32_e32 v157, v157, v51                              // 0000000085A0: 0B3A679D
	v_mul_f32_e32 v158, v158, v52                              // 0000000085A4: 0B3C699E
	v_mul_f32_e32 v159, v159, v53                              // 0000000085A8: 0B3E6B9F
	v_mul_f32_e32 v156, v156, v92                              // 0000000085AC: 0B38B99C
	v_mul_f32_e32 v157, v157, v93                              // 0000000085B0: 0B3ABB9D
	v_mul_f32_e32 v158, v158, v94                              // 0000000085B4: 0B3CBD9E
	v_mul_f32_e32 v159, v159, v95                              // 0000000085B8: 0B3EBF9F
	s_waitcnt vmcnt(16)                                        // 0000000085BC: BF8C4F70
	buffer_load_dwordx4 a[64:67], v39, s[12:15], 0 offen       // 0000000085C0: E05C1000 80834027
	v_mul_f32_e32 v50, v160, v160                              // 0000000085C8: 0A6541A0
	v_mul_f32_e32 v51, v161, v161                              // 0000000085CC: 0A6743A1
	v_mul_f32_e32 v52, v162, v162                              // 0000000085D0: 0A6945A2
	v_mul_f32_e32 v53, v163, v163                              // 0000000085D4: 0A6B47A3
	v_fma_f32 v50, v50, s77, v1                                // 0000000085D8: D1CB0032 04049B32
	v_fma_f32 v51, v51, s77, v1                                // 0000000085E0: D1CB0033 04049B33
	v_fma_f32 v52, v52, s77, v1                                // 0000000085E8: D1CB0034 04049B34
	v_fma_f32 v53, v53, s77, v1                                // 0000000085F0: D1CB0035 04049B35
	v_mul_f32_e32 v50, v50, v160                               // 0000000085F8: 0A654132
	v_mul_f32_e32 v51, v51, v161                               // 0000000085FC: 0A674333
	v_mul_f32_e32 v52, v52, v162                               // 000000008600: 0A694534
	v_mul_f32_e32 v53, v53, v163                               // 000000008604: 0A6B4735
	v_mul_f32_e64 v50, v50, s6                                 // 000000008608: D1050032 00000D32
	v_mul_f32_e64 v51, v51, s6                                 // 000000008610: D1050033 00000D33
	v_mul_f32_e64 v52, v52, s6                                 // 000000008618: D1050034 00000D34
	v_mul_f32_e64 v53, v53, s6                                 // 000000008620: D1050035 00000D35
	v_exp_f32_e32 v50, v50                                     // 000000008628: 7E644132
	v_exp_f32_e32 v51, v51                                     // 00000000862C: 7E664133
	v_exp_f32_e32 v52, v52                                     // 000000008630: 7E684134
	v_exp_f32_e32 v53, v53                                     // 000000008634: 7E6A4135
	buffer_load_dwordx4 a[68:71], v40, s[12:15], 0 offen       // 000000008638: E05C1000 80834428
	v_add_f32_e64 v50, v50, 1.0                                // 000000008640: D1010032 0001E532
	v_add_f32_e64 v51, v51, 1.0                                // 000000008648: D1010033 0001E533
	v_add_f32_e64 v52, v52, 1.0                                // 000000008650: D1010034 0001E534
	v_add_f32_e64 v53, v53, 1.0                                // 000000008658: D1010035 0001E535
	v_rcp_f32_e32 v50, v50                                     // 000000008660: 7E644532
	v_rcp_f32_e32 v51, v51                                     // 000000008664: 7E664533
	v_rcp_f32_e32 v52, v52                                     // 000000008668: 7E684534
	v_rcp_f32_e32 v53, v53                                     // 00000000866C: 7E6A4535
	v_mul_f32_e32 v160, v160, v50                              // 000000008670: 0B4065A0
	v_mul_f32_e32 v161, v161, v51                              // 000000008674: 0B4267A1
	v_mul_f32_e32 v162, v162, v52                              // 000000008678: 0B4469A2
	v_mul_f32_e32 v163, v163, v53                              // 00000000867C: 0B466BA3
	v_mul_f32_e32 v160, v160, v96                              // 000000008680: 0B40C1A0
	v_mul_f32_e32 v161, v161, v97                              // 000000008684: 0B42C3A1
	v_mul_f32_e32 v162, v162, v98                              // 000000008688: 0B44C5A2
	v_mul_f32_e32 v163, v163, v99                              // 00000000868C: 0B46C7A3
	buffer_load_dwordx4 a[72:75], v41, s[12:15], 0 offen       // 000000008690: E05C1000 80834829
	v_mul_f32_e32 v50, v164, v164                              // 000000008698: 0A6549A4
	v_mul_f32_e32 v51, v165, v165                              // 00000000869C: 0A674BA5
	v_mul_f32_e32 v52, v166, v166                              // 0000000086A0: 0A694DA6
	v_mul_f32_e32 v53, v167, v167                              // 0000000086A4: 0A6B4FA7
	v_fma_f32 v50, v50, s77, v1                                // 0000000086A8: D1CB0032 04049B32
	v_fma_f32 v51, v51, s77, v1                                // 0000000086B0: D1CB0033 04049B33
	v_fma_f32 v52, v52, s77, v1                                // 0000000086B8: D1CB0034 04049B34
	v_fma_f32 v53, v53, s77, v1                                // 0000000086C0: D1CB0035 04049B35
	v_mul_f32_e32 v50, v50, v164                               // 0000000086C8: 0A654932
	v_mul_f32_e32 v51, v51, v165                               // 0000000086CC: 0A674B33
	v_mul_f32_e32 v52, v52, v166                               // 0000000086D0: 0A694D34
	v_mul_f32_e32 v53, v53, v167                               // 0000000086D4: 0A6B4F35
	v_mul_f32_e64 v50, v50, s6                                 // 0000000086D8: D1050032 00000D32
	v_mul_f32_e64 v51, v51, s6                                 // 0000000086E0: D1050033 00000D33
	v_mul_f32_e64 v52, v52, s6                                 // 0000000086E8: D1050034 00000D34
	v_mul_f32_e64 v53, v53, s6                                 // 0000000086F0: D1050035 00000D35
	v_exp_f32_e32 v50, v50                                     // 0000000086F8: 7E644132
	v_exp_f32_e32 v51, v51                                     // 0000000086FC: 7E664133
	v_exp_f32_e32 v52, v52                                     // 000000008700: 7E684134
	v_exp_f32_e32 v53, v53                                     // 000000008704: 7E6A4135
	buffer_load_dwordx4 a[76:79], v42, s[12:15], 0 offen       // 000000008708: E05C1000 80834C2A
	v_add_f32_e64 v50, v50, 1.0                                // 000000008710: D1010032 0001E532
	v_add_f32_e64 v51, v51, 1.0                                // 000000008718: D1010033 0001E533
	v_add_f32_e64 v52, v52, 1.0                                // 000000008720: D1010034 0001E534
	v_add_f32_e64 v53, v53, 1.0                                // 000000008728: D1010035 0001E535
	v_rcp_f32_e32 v50, v50                                     // 000000008730: 7E644532
	v_rcp_f32_e32 v51, v51                                     // 000000008734: 7E664533
	v_rcp_f32_e32 v52, v52                                     // 000000008738: 7E684534
	v_rcp_f32_e32 v53, v53                                     // 00000000873C: 7E6A4535
	v_mul_f32_e32 v164, v164, v50                              // 000000008740: 0B4865A4
	v_mul_f32_e32 v165, v165, v51                              // 000000008744: 0B4A67A5
	v_mul_f32_e32 v166, v166, v52                              // 000000008748: 0B4C69A6
	v_mul_f32_e32 v167, v167, v53                              // 00000000874C: 0B4E6BA7
	v_mul_f32_e32 v164, v164, v100                             // 000000008750: 0B48C9A4
	v_mul_f32_e32 v165, v165, v101                             // 000000008754: 0B4ACBA5
	v_mul_f32_e32 v166, v166, v102                             // 000000008758: 0B4CCDA6
	v_mul_f32_e32 v167, v167, v103                             // 00000000875C: 0B4ECFA7
	v_lshlrev_b32_e32 v50, 2, v0                               // 000000008760: 24640082
	s_mul_i32 s60, s82, s71                                    // 000000008764: 923C4752
	v_add_u32_e64 v80, v50, s60                                // 000000008768: D1340050 00007932
	v_mov_b32_e32 v81, 0                                       // 000000008770: 7EA20280
	s_mul_i32 s60, s83, s71                                    // 000000008774: 923C4753
	v_add_u32_e64 v82, v50, s60                                // 000000008778: D1340052 00007932
	v_mov_b32_e32 v83, 0                                       // 000000008780: 7EA60280
	s_mul_i32 s60, s84, s71                                    // 000000008784: 923C4754
	v_add_u32_e64 v84, v50, s60                                // 000000008788: D1340054 00007932
	v_mov_b32_e32 v85, 0                                       // 000000008790: 7EAA0280
	s_mul_i32 s60, s85, s71                                    // 000000008794: 923C4755
	v_add_u32_e64 v86, v50, s60                                // 000000008798: D1340056 00007932
	v_mov_b32_e32 v87, 0                                       // 0000000087A0: 7EAE0280
	s_mul_i32 s60, s86, s71                                    // 0000000087A4: 923C4756
	v_add_u32_e64 v88, v50, s60                                // 0000000087A8: D1340058 00007932
	v_mov_b32_e32 v89, 0                                       // 0000000087B0: 7EB20280
	s_mul_i32 s60, s87, s71                                    // 0000000087B4: 923C4757
	v_add_u32_e64 v90, v50, s60                                // 0000000087B8: D134005A 00007932
	v_mov_b32_e32 v91, 0                                       // 0000000087C0: 7EB60280
	s_mul_i32 s60, s88, s71                                    // 0000000087C4: 923C4758
	v_add_u32_e64 v92, v50, s60                                // 0000000087C8: D134005C 00007932
	v_mov_b32_e32 v93, 0                                       // 0000000087D0: 7EBA0280
	s_mul_i32 s60, s89, s71                                    // 0000000087D4: 923C4759
	v_add_u32_e64 v94, v50, s60                                // 0000000087D8: D134005E 00007932
	v_mov_b32_e32 v95, 0                                       // 0000000087E0: 7EBE0280
	buffer_load_dword v12, v5, s[16:19], 0 offen               // 0000000087E4: E0501000 80040C05
	v_mov_b32_e32 v22, 0x358637bd                              // 0000000087EC: 7E2C02FF 358637BD
	v_mov_b32_e32 v23, 0x358637bd                              // 0000000087F4: 7E2E02FF 358637BD
	v_max3_f32 v22, |v128|, |v129|, v22                        // 0000000087FC: D1D30316 045B0380
	v_max3_f32 v22, |v130|, |v131|, v22                        // 000000008804: D1D30316 045B0782
	v_max3_f32 v23, |v132|, |v133|, v23                        // 00000000880C: D1D30317 045F0B84
	v_max3_f32 v23, |v134|, |v135|, v23                        // 000000008814: D1D30317 045F0F86
	v_max3_f32 v22, |v136|, |v137|, v22                        // 00000000881C: D1D30316 045B1388
	v_max3_f32 v22, |v138|, |v139|, v22                        // 000000008824: D1D30316 045B178A
	v_max3_f32 v23, |v140|, |v141|, v23                        // 00000000882C: D1D30317 045F1B8C
	v_max3_f32 v23, |v142|, |v143|, v23                        // 000000008834: D1D30317 045F1F8E
	v_max3_f32 v22, |v144|, |v145|, v22                        // 00000000883C: D1D30316 045B2390
	v_max3_f32 v22, |v146|, |v147|, v22                        // 000000008844: D1D30316 045B2792
	v_max3_f32 v23, |v148|, |v149|, v23                        // 00000000884C: D1D30317 045F2B94
	v_max3_f32 v23, |v150|, |v151|, v23                        // 000000008854: D1D30317 045F2F96
	v_max3_f32 v22, |v152|, |v153|, v22                        // 00000000885C: D1D30316 045B3398
	v_max3_f32 v22, |v154|, |v155|, v22                        // 000000008864: D1D30316 045B379A
	v_max3_f32 v23, |v156|, |v157|, v23                        // 00000000886C: D1D30317 045F3B9C
	v_max3_f32 v23, |v158|, |v159|, v23                        // 000000008874: D1D30317 045F3F9E
	v_max3_f32 v22, |v160|, |v161|, v22                        // 00000000887C: D1D30316 045B43A0
	v_max3_f32 v22, |v162|, |v163|, v22                        // 000000008884: D1D30316 045B47A2
	v_max3_f32 v23, |v164|, |v165|, v23                        // 00000000888C: D1D30317 045F4BA4
	v_max3_f32 v23, |v166|, |v167|, v23                        // 000000008894: D1D30317 045F4FA6
	v_lshlrev_b32_e32 v50, 3, v0                               // 00000000889C: 24640083
	s_mul_i32 s60, 0x200, s7                                   // 0000000088A0: 923C07FF 00000200
	v_add_u32_e32 v50, s60, v50                                // 0000000088A8: 6864643C
	ds_write_b64 v50, v[22:23] offset:16640                    // 0000000088AC: D89A4100 00001632
	s_waitcnt lgkmcnt(0)                                       // 0000000088B4: BF8CC07F
	s_barrier                                                  // 0000000088B8: BF8A0000
	v_and_b32_e32 v50, 15, v0                                  // 0000000088BC: 2664008F
	v_lshlrev_b32_e32 v50, 3, v50                              // 0000000088C0: 24646483
	ds_read_b64 v[96:97], v50 offset:16640                     // 0000000088C4: D8EC4100 60000032
	ds_read_b64 v[98:99], v50 offset:16768                     // 0000000088CC: D8EC4180 62000032
	ds_read_b64 v[100:101], v50 offset:16896                   // 0000000088D4: D8EC4200 64000032
	ds_read_b64 v[102:103], v50 offset:17024                   // 0000000088DC: D8EC4280 66000032
	ds_read_b64 v[104:105], v50 offset:17152                   // 0000000088E4: D8EC4300 68000032
	ds_read_b64 v[106:107], v50 offset:17280                   // 0000000088EC: D8EC4380 6A000032
	ds_read_b64 v[108:109], v50 offset:17408                   // 0000000088F4: D8EC4400 6C000032
	ds_read_b64 v[110:111], v50 offset:17536                   // 0000000088FC: D8EC4480 6E000032
	ds_read_b64 v[112:113], v50 offset:17664                   // 000000008904: D8EC4500 70000032
	ds_read_b64 v[114:115], v50 offset:17792                   // 00000000890C: D8EC4580 72000032
	ds_read_b64 v[116:117], v50 offset:17920                   // 000000008914: D8EC4600 74000032
	ds_read_b64 v[118:119], v50 offset:18048                   // 00000000891C: D8EC4680 76000032
	ds_read_b64 v[120:121], v50 offset:18176                   // 000000008924: D8EC4700 78000032
	ds_read_b64 v[122:123], v50 offset:18304                   // 00000000892C: D8EC4780 7A000032
	ds_read_b64 v[124:125], v50 offset:18432                   // 000000008934: D8EC4800 7C000032
	ds_read_b64 v[126:127], v50 offset:18560                   // 00000000893C: D8EC4880 7E000032
	s_waitcnt lgkmcnt(0)                                       // 000000008944: BF8CC07F
	v_max3_f32 v22, |v96|, |v98|, v22                          // 000000008948: D1D30316 045AC560
	v_max3_f32 v23, |v97|, |v99|, v23                          // 000000008950: D1D30317 045EC761
	v_max3_f32 v22, |v100|, |v102|, v22                        // 000000008958: D1D30316 045ACD64
	v_max3_f32 v23, |v101|, |v103|, v23                        // 000000008960: D1D30317 045ECF65
	v_max3_f32 v22, |v104|, |v106|, v22                        // 000000008968: D1D30316 045AD568
	v_max3_f32 v23, |v105|, |v107|, v23                        // 000000008970: D1D30317 045ED769
	v_max3_f32 v22, |v108|, |v110|, v22                        // 000000008978: D1D30316 045ADD6C
	v_max3_f32 v23, |v109|, |v111|, v23                        // 000000008980: D1D30317 045EDF6D
	v_max3_f32 v22, |v112|, |v114|, v22                        // 000000008988: D1D30316 045AE570
	v_max3_f32 v23, |v113|, |v115|, v23                        // 000000008990: D1D30317 045EE771
	v_max3_f32 v22, |v116|, |v118|, v22                        // 000000008998: D1D30316 045AED74
	v_max3_f32 v23, |v117|, |v119|, v23                        // 0000000089A0: D1D30317 045EEF75
	v_max3_f32 v22, |v120|, |v122|, v22                        // 0000000089A8: D1D30316 045AF578
	v_max3_f32 v23, |v121|, |v123|, v23                        // 0000000089B0: D1D30317 045EF779
	v_max3_f32 v22, |v124|, |v126|, v22                        // 0000000089B8: D1D30316 045AFD7C
	v_max3_f32 v23, |v125|, |v127|, v23                        // 0000000089C0: D1D30317 045EFF7D
	v_rcp_f32_e32 v22, v22                                     // 0000000089C8: 7E2C4516
	v_rcp_f32_e32 v23, v23                                     // 0000000089CC: 7E2E4517
	v_mov_b32_e32 v50, 0x43700000                              // 0000000089D0: 7E6402FF 43700000
	v_mul_f32_e32 v22, v50, v22                                // 0000000089D8: 0A2C2D32
	v_mul_f32_e32 v23, v50, v23                                // 0000000089DC: 0A2E2F32
	v_mul_f32_e32 v128, v22, v128                              // 0000000089E0: 0B010116
	v_mul_f32_e32 v129, v22, v129                              // 0000000089E4: 0B030316
	v_mul_f32_e32 v130, v22, v130                              // 0000000089E8: 0B050516
	v_mul_f32_e32 v131, v22, v131                              // 0000000089EC: 0B070716
	v_cvt_pk_fp8_f32 v128, v128, v129                          // 0000000089F0: D2A20080 00030380
	v_cvt_pk_fp8_f32 v128, v130, v131 op_sel:[0,0,1]           // 0000000089F8: D2A24080 00030782
	v_mul_f32_e32 v132, v23, v132                              // 000000008A00: 0B090917
	v_mul_f32_e32 v133, v23, v133                              // 000000008A04: 0B0B0B17
	v_mul_f32_e32 v134, v23, v134                              // 000000008A08: 0B0D0D17
	v_mul_f32_e32 v135, v23, v135                              // 000000008A0C: 0B0F0F17
	v_cvt_pk_fp8_f32 v129, v132, v133                          // 000000008A10: D2A20081 00030B84
	v_cvt_pk_fp8_f32 v129, v134, v135 op_sel:[0,0,1]           // 000000008A18: D2A24081 00030F86
	v_mul_f32_e32 v136, v22, v136                              // 000000008A20: 0B111116
	v_mul_f32_e32 v137, v22, v137                              // 000000008A24: 0B131316
	v_mul_f32_e32 v138, v22, v138                              // 000000008A28: 0B151516
	v_mul_f32_e32 v139, v22, v139                              // 000000008A2C: 0B171716
	v_cvt_pk_fp8_f32 v130, v136, v137                          // 000000008A30: D2A20082 00031388
	v_cvt_pk_fp8_f32 v130, v138, v139 op_sel:[0,0,1]           // 000000008A38: D2A24082 0003178A
	v_mul_f32_e32 v140, v23, v140                              // 000000008A40: 0B191917
	v_mul_f32_e32 v141, v23, v141                              // 000000008A44: 0B1B1B17
	v_mul_f32_e32 v142, v23, v142                              // 000000008A48: 0B1D1D17
	v_mul_f32_e32 v143, v23, v143                              // 000000008A4C: 0B1F1F17
	v_cvt_pk_fp8_f32 v131, v140, v141                          // 000000008A50: D2A20083 00031B8C
	v_cvt_pk_fp8_f32 v131, v142, v143 op_sel:[0,0,1]           // 000000008A58: D2A24083 00031F8E
	v_mul_f32_e32 v144, v22, v144                              // 000000008A60: 0B212116
	v_mul_f32_e32 v145, v22, v145                              // 000000008A64: 0B232316
	v_mul_f32_e32 v146, v22, v146                              // 000000008A68: 0B252516
	v_mul_f32_e32 v147, v22, v147                              // 000000008A6C: 0B272716
	v_cvt_pk_fp8_f32 v132, v144, v145                          // 000000008A70: D2A20084 00032390
	v_cvt_pk_fp8_f32 v132, v146, v147 op_sel:[0,0,1]           // 000000008A78: D2A24084 00032792
	v_mul_f32_e32 v148, v23, v148                              // 000000008A80: 0B292917
	v_mul_f32_e32 v149, v23, v149                              // 000000008A84: 0B2B2B17
	v_mul_f32_e32 v150, v23, v150                              // 000000008A88: 0B2D2D17
	v_mul_f32_e32 v151, v23, v151                              // 000000008A8C: 0B2F2F17
	v_cvt_pk_fp8_f32 v133, v148, v149                          // 000000008A90: D2A20085 00032B94
	v_cvt_pk_fp8_f32 v133, v150, v151 op_sel:[0,0,1]           // 000000008A98: D2A24085 00032F96
	v_mul_f32_e32 v152, v22, v152                              // 000000008AA0: 0B313116
	v_mul_f32_e32 v153, v22, v153                              // 000000008AA4: 0B333316
	v_mul_f32_e32 v154, v22, v154                              // 000000008AA8: 0B353516
	v_mul_f32_e32 v155, v22, v155                              // 000000008AAC: 0B373716
	v_cvt_pk_fp8_f32 v134, v152, v153                          // 000000008AB0: D2A20086 00033398
	v_cvt_pk_fp8_f32 v134, v154, v155 op_sel:[0,0,1]           // 000000008AB8: D2A24086 0003379A
	v_mul_f32_e32 v156, v23, v156                              // 000000008AC0: 0B393917
	v_mul_f32_e32 v157, v23, v157                              // 000000008AC4: 0B3B3B17
	v_mul_f32_e32 v158, v23, v158                              // 000000008AC8: 0B3D3D17
	v_mul_f32_e32 v159, v23, v159                              // 000000008ACC: 0B3F3F17
	v_cvt_pk_fp8_f32 v135, v156, v157                          // 000000008AD0: D2A20087 00033B9C
	v_cvt_pk_fp8_f32 v135, v158, v159 op_sel:[0,0,1]           // 000000008AD8: D2A24087 00033F9E
	v_mul_f32_e32 v160, v22, v160                              // 000000008AE0: 0B414116
	v_mul_f32_e32 v161, v22, v161                              // 000000008AE4: 0B434316
	v_mul_f32_e32 v162, v22, v162                              // 000000008AE8: 0B454516
	v_mul_f32_e32 v163, v22, v163                              // 000000008AEC: 0B474716
	v_cvt_pk_fp8_f32 v136, v160, v161                          // 000000008AF0: D2A20088 000343A0
	v_cvt_pk_fp8_f32 v136, v162, v163 op_sel:[0,0,1]           // 000000008AF8: D2A24088 000347A2
	v_mul_f32_e32 v164, v23, v164                              // 000000008B00: 0B494917
	v_mul_f32_e32 v165, v23, v165                              // 000000008B04: 0B4B4B17
	v_mul_f32_e32 v166, v23, v166                              // 000000008B08: 0B4D4D17
	v_mul_f32_e32 v167, v23, v167                              // 000000008B0C: 0B4F4F17
	v_cvt_pk_fp8_f32 v137, v164, v165                          // 000000008B10: D2A20089 00034BA4
	v_cvt_pk_fp8_f32 v137, v166, v167 op_sel:[0,0,1]           // 000000008B18: D2A24089 00034FA6
	v_rcp_f32_e32 v24, v22                                     // 000000008B20: 7E304516
	v_rcp_f32_e32 v25, v23                                     // 000000008B24: 7E324517
	v_lshrrev_b32_e32 v50, 5, v0                               // 000000008B28: 20640085
	v_lshlrev_b32_e32 v51, 5, v50                              // 000000008B2C: 24666485
	v_and_b32_e32 v50, 31, v0                                  // 000000008B30: 2664009F
	v_lshrrev_b32_e32 v52, 4, v50                              // 000000008B34: 20686484
	v_add_u32_e32 v51, v52, v51                                // 000000008B38: 68666734
	v_and_b32_e32 v50, 15, v0                                  // 000000008B3C: 2664008F
	v_lshlrev_b32_e32 v50, 1, v50                              // 000000008B40: 24646481
	v_add_u32_e32 v51, v50, v51                                // 000000008B44: 68666732
	v_lshlrev_b32_e32 v50, 2, v51                              // 000000008B48: 24646682
	s_mul_i32 s60, 0x100, s7                                   // 000000008B4C: 923C07FF 00000100
	v_add_u32_e64 v50, v50, s60                                // 000000008B54: D1340032 00007932
	ds_write_b32 v50, v128 offset:18688                        // 000000008B5C: D81A4900 00008032
	ds_write_b32 v50, v129 offset:23808                        // 000000008B64: D81A5D00 00008132
	ds_write_b32 v50, v130 offset:19712                        // 000000008B6C: D81A4D00 00008232
	ds_write_b32 v50, v131 offset:24832                        // 000000008B74: D81A6100 00008332
	ds_write_b32 v50, v132 offset:20736                        // 000000008B7C: D81A5100 00008432
	ds_write_b32 v50, v133 offset:25856                        // 000000008B84: D81A6500 00008532
	ds_write_b32 v50, v134 offset:21760                        // 000000008B8C: D81A5500 00008632
	ds_write_b32 v50, v135 offset:26880                        // 000000008B94: D81A6900 00008732
	ds_write_b32 v50, v136 offset:22784                        // 000000008B9C: D81A5900 00008832
	ds_write_b32 v50, v137 offset:27904                        // 000000008BA4: D81A6D00 00008932
	s_waitcnt lgkmcnt(0)                                       // 000000008BAC: BF8CC07F
	s_barrier                                                  // 000000008BB0: BF8A0000
	v_lshrrev_b32_e32 v50, 4, v0                               // 000000008BB4: 20640084
	v_lshlrev_b32_e32 v51, 6, v50                              // 000000008BB8: 24666486
	v_and_b32_e32 v50, 15, v0                                  // 000000008BBC: 2664008F
	v_lshlrev_b32_e32 v50, 1, v50                              // 000000008BC0: 24646481
	v_add_u32_e32 v51, v50, v51                                // 000000008BC4: 68666732
	v_lshlrev_b32_e32 v50, 2, v51                              // 000000008BC8: 24646682
	ds_read_b64 v[128:129], v50 offset:18688                   // 000000008BCC: D8EC4900 80000032
	ds_read_b64 v[130:131], v50 offset:18816                   // 000000008BD4: D8EC4980 82000032
	ds_read_b64 v[132:133], v50 offset:19712                   // 000000008BDC: D8EC4D00 84000032
	ds_read_b64 v[134:135], v50 offset:19840                   // 000000008BE4: D8EC4D80 86000032
	ds_read_b64 v[136:137], v50 offset:20736                   // 000000008BEC: D8EC5100 88000032
	ds_read_b64 v[138:139], v50 offset:20864                   // 000000008BF4: D8EC5180 8A000032
	ds_read_b64 v[140:141], v50 offset:21760                   // 000000008BFC: D8EC5500 8C000032
	ds_read_b64 v[142:143], v50 offset:21888                   // 000000008C04: D8EC5580 8E000032
	ds_read_b64 v[144:145], v50 offset:22784                   // 000000008C0C: D8EC5900 90000032
	ds_read_b64 v[146:147], v50 offset:22912                   // 000000008C14: D8EC5980 92000032
	ds_read_b64 v[148:149], v50 offset:23808                   // 000000008C1C: D8EC5D00 94000032
	ds_read_b64 v[150:151], v50 offset:23936                   // 000000008C24: D8EC5D80 96000032
	ds_read_b64 v[152:153], v50 offset:24832                   // 000000008C2C: D8EC6100 98000032
	ds_read_b64 v[154:155], v50 offset:24960                   // 000000008C34: D8EC6180 9A000032
	ds_read_b64 v[156:157], v50 offset:25856                   // 000000008C3C: D8EC6500 9C000032
	ds_read_b64 v[158:159], v50 offset:25984                   // 000000008C44: D8EC6580 9E000032
	ds_read_b64 v[160:161], v50 offset:26880                   // 000000008C4C: D8EC6900 A0000032
	ds_read_b64 v[162:163], v50 offset:27008                   // 000000008C54: D8EC6980 A2000032
	ds_read_b64 v[164:165], v50 offset:27904                   // 000000008C5C: D8EC6D00 A4000032
	ds_read_b64 v[166:167], v50 offset:28032                   // 000000008C64: D8EC6D80 A6000032
	s_add_u32 s12, s56, s12                                    // 000000008C6C: 800C0C38
	s_addc_u32 s13, 0, s13                                     // 000000008C70: 820D0D80
	s_add_u32 s16, s79, s16                                    // 000000008C74: 8010104F
	s_addc_u32 s17, 0, s17                                     // 000000008C78: 82111180
	s_mov_b32 s80, 0                                           // 000000008C7C: BED00080
	s_waitcnt vmcnt(0) expcnt(0) lgkmcnt(0)                    // 000000008C80: BF8C0000

0000000000008c84 <label_1861>:
	s_waitcnt vmcnt(33)                                        // 000000008C84: BF8C8F71
	s_barrier                                                  // 000000008C88: BF8A0000
	v_mfma_f32_16x16x32_fp8_fp8 v[168:171], a[0:1], v[128:129], 0// 000000008C8C: D3F300A8 0A030100
	buffer_load_dwordx4 a[80:83], v39, s[12:15], 0 offen       // 000000008C94: E05C1000 80835027
	v_mfma_f32_16x16x32_fp8_fp8 v[168:171], a[2:3], v[130:131], v[168:171]// 000000008C9C: D3F300A8 0EA30502
	v_mfma_f32_16x16x32_fp8_fp8 v[172:175], a[0:1], v[148:149], 0// 000000008CA4: D3F300AC 0A032900
	v_mfma_f32_16x16x32_fp8_fp8 v[172:175], a[2:3], v[150:151], v[172:175]// 000000008CAC: D3F300AC 0EB32D02
	v_mfma_f32_16x16x32_fp8_fp8 v[176:179], a[4:5], v[128:129], 0// 000000008CB4: D3F300B0 0A030104
	buffer_load_dwordx4 a[84:87], v40, s[12:15], 0 offen       // 000000008CBC: E05C1000 80835428
	v_mfma_f32_16x16x32_fp8_fp8 v[176:179], a[6:7], v[130:131], v[176:179]// 000000008CC4: D3F300B0 0EC30506
	v_mfma_f32_16x16x32_fp8_fp8 v[180:183], a[4:5], v[148:149], 0// 000000008CCC: D3F300B4 0A032904
	v_mfma_f32_16x16x32_fp8_fp8 v[180:183], a[6:7], v[150:151], v[180:183]// 000000008CD4: D3F300B4 0ED32D06
	v_mfma_f32_16x16x32_fp8_fp8 v[184:187], a[8:9], v[128:129], 0// 000000008CDC: D3F300B8 0A030108
	buffer_load_dwordx4 a[88:91], v41, s[12:15], 0 offen       // 000000008CE4: E05C1000 80835829
	v_mfma_f32_16x16x32_fp8_fp8 v[184:187], a[10:11], v[130:131], v[184:187]// 000000008CEC: D3F300B8 0EE3050A
	v_mfma_f32_16x16x32_fp8_fp8 v[188:191], a[8:9], v[148:149], 0// 000000008CF4: D3F300BC 0A032908
	v_mfma_f32_16x16x32_fp8_fp8 v[188:191], a[10:11], v[150:151], v[188:191]// 000000008CFC: D3F300BC 0EF32D0A
	v_mfma_f32_16x16x32_fp8_fp8 v[192:195], a[12:13], v[128:129], 0// 000000008D04: D3F300C0 0A03010C
	buffer_load_dwordx4 a[92:95], v42, s[12:15], 0 offen       // 000000008D0C: E05C1000 80835C2A
	s_add_u32 s12, s78, s12                                    // 000000008D14: 800C0C4E
	s_addc_u32 s13, 0, s13                                     // 000000008D18: 820D0D80
	v_mfma_f32_16x16x32_fp8_fp8 v[192:195], a[14:15], v[130:131], v[192:195]// 000000008D1C: D3F300C0 0F03050E
	v_mfma_f32_16x16x32_fp8_fp8 v[196:199], a[12:13], v[148:149], 0// 000000008D24: D3F300C4 0A03290C
	v_mfma_f32_16x16x32_fp8_fp8 v[196:199], a[14:15], v[150:151], v[196:199]// 000000008D2C: D3F300C4 0F132D0E
	s_waitcnt vmcnt(33)                                        // 000000008D34: BF8C8F71
	v_mfma_f32_16x16x32_fp8_fp8 v[168:171], a[16:17], v[132:133], v[168:171]// 000000008D38: D3F300A8 0EA30910
	buffer_load_dwordx4 a[96:99], v39, s[12:15], 0 offen       // 000000008D40: E05C1000 80836027
	v_mfma_f32_16x16x32_fp8_fp8 v[168:171], a[18:19], v[134:135], v[168:171]// 000000008D48: D3F300A8 0EA30D12
	v_mfma_f32_16x16x32_fp8_fp8 v[172:175], a[16:17], v[152:153], v[172:175]// 000000008D50: D3F300AC 0EB33110
	v_mfma_f32_16x16x32_fp8_fp8 v[172:175], a[18:19], v[154:155], v[172:175]// 000000008D58: D3F300AC 0EB33512
	v_mfma_f32_16x16x32_fp8_fp8 v[176:179], a[20:21], v[132:133], v[176:179]// 000000008D60: D3F300B0 0EC30914
	buffer_load_dwordx4 a[100:103], v40, s[12:15], 0 offen     // 000000008D68: E05C1000 80836428
	v_mfma_f32_16x16x32_fp8_fp8 v[176:179], a[22:23], v[134:135], v[176:179]// 000000008D70: D3F300B0 0EC30D16
	v_mfma_f32_16x16x32_fp8_fp8 v[180:183], a[20:21], v[152:153], v[180:183]// 000000008D78: D3F300B4 0ED33114
	v_mfma_f32_16x16x32_fp8_fp8 v[180:183], a[22:23], v[154:155], v[180:183]// 000000008D80: D3F300B4 0ED33516
	v_mfma_f32_16x16x32_fp8_fp8 v[184:187], a[24:25], v[132:133], v[184:187]// 000000008D88: D3F300B8 0EE30918
	buffer_load_dwordx4 a[104:107], v41, s[12:15], 0 offen     // 000000008D90: E05C1000 80836829
	v_mfma_f32_16x16x32_fp8_fp8 v[184:187], a[26:27], v[134:135], v[184:187]// 000000008D98: D3F300B8 0EE30D1A
	v_mfma_f32_16x16x32_fp8_fp8 v[188:191], a[24:25], v[152:153], v[188:191]// 000000008DA0: D3F300BC 0EF33118
	v_mfma_f32_16x16x32_fp8_fp8 v[188:191], a[26:27], v[154:155], v[188:191]// 000000008DA8: D3F300BC 0EF3351A
	v_mfma_f32_16x16x32_fp8_fp8 v[192:195], a[28:29], v[132:133], v[192:195]// 000000008DB0: D3F300C0 0F03091C
	buffer_load_dwordx4 a[108:111], v42, s[12:15], 0 offen     // 000000008DB8: E05C1000 80836C2A
	s_add_u32 s12, s78, s12                                    // 000000008DC0: 800C0C4E
	s_addc_u32 s13, 0, s13                                     // 000000008DC4: 820D0D80
	v_mfma_f32_16x16x32_fp8_fp8 v[192:195], a[30:31], v[134:135], v[192:195]// 000000008DC8: D3F300C0 0F030D1E
	v_mfma_f32_16x16x32_fp8_fp8 v[196:199], a[28:29], v[152:153], v[196:199]// 000000008DD0: D3F300C4 0F13311C
	v_mfma_f32_16x16x32_fp8_fp8 v[196:199], a[30:31], v[154:155], v[196:199]// 000000008DD8: D3F300C4 0F13351E
	s_waitcnt vmcnt(33)                                        // 000000008DE0: BF8C8F71
	v_mfma_f32_16x16x32_fp8_fp8 v[168:171], a[32:33], v[136:137], v[168:171]// 000000008DE4: D3F300A8 0EA31120
	buffer_load_dwordx4 a[112:115], v39, s[12:15], 0 offen     // 000000008DEC: E05C1000 80837027
	v_mfma_f32_16x16x32_fp8_fp8 v[168:171], a[34:35], v[138:139], v[168:171]// 000000008DF4: D3F300A8 0EA31522
	v_mfma_f32_16x16x32_fp8_fp8 v[172:175], a[32:33], v[156:157], v[172:175]// 000000008DFC: D3F300AC 0EB33920
	v_mfma_f32_16x16x32_fp8_fp8 v[172:175], a[34:35], v[158:159], v[172:175]// 000000008E04: D3F300AC 0EB33D22
	v_mfma_f32_16x16x32_fp8_fp8 v[176:179], a[36:37], v[136:137], v[176:179]// 000000008E0C: D3F300B0 0EC31124
	buffer_load_dwordx4 a[116:119], v40, s[12:15], 0 offen     // 000000008E14: E05C1000 80837428
	v_mfma_f32_16x16x32_fp8_fp8 v[176:179], a[38:39], v[138:139], v[176:179]// 000000008E1C: D3F300B0 0EC31526
	v_mfma_f32_16x16x32_fp8_fp8 v[180:183], a[36:37], v[156:157], v[180:183]// 000000008E24: D3F300B4 0ED33924
	v_mfma_f32_16x16x32_fp8_fp8 v[180:183], a[38:39], v[158:159], v[180:183]// 000000008E2C: D3F300B4 0ED33D26
	v_mfma_f32_16x16x32_fp8_fp8 v[184:187], a[40:41], v[136:137], v[184:187]// 000000008E34: D3F300B8 0EE31128
	buffer_load_dwordx4 a[120:123], v41, s[12:15], 0 offen     // 000000008E3C: E05C1000 80837829
	v_mfma_f32_16x16x32_fp8_fp8 v[184:187], a[42:43], v[138:139], v[184:187]// 000000008E44: D3F300B8 0EE3152A
	v_mfma_f32_16x16x32_fp8_fp8 v[188:191], a[40:41], v[156:157], v[188:191]// 000000008E4C: D3F300BC 0EF33928
	v_mfma_f32_16x16x32_fp8_fp8 v[188:191], a[42:43], v[158:159], v[188:191]// 000000008E54: D3F300BC 0EF33D2A
	v_mfma_f32_16x16x32_fp8_fp8 v[192:195], a[44:45], v[136:137], v[192:195]// 000000008E5C: D3F300C0 0F03112C
	buffer_load_dwordx4 a[124:127], v42, s[12:15], 0 offen     // 000000008E64: E05C1000 80837C2A
	s_add_u32 s12, s78, s12                                    // 000000008E6C: 800C0C4E
	s_addc_u32 s13, 0, s13                                     // 000000008E70: 820D0D80
	v_mfma_f32_16x16x32_fp8_fp8 v[192:195], a[46:47], v[138:139], v[192:195]// 000000008E74: D3F300C0 0F03152E
	v_mfma_f32_16x16x32_fp8_fp8 v[196:199], a[44:45], v[156:157], v[196:199]// 000000008E7C: D3F300C4 0F13392C
	v_mfma_f32_16x16x32_fp8_fp8 v[196:199], a[46:47], v[158:159], v[196:199]// 000000008E84: D3F300C4 0F133D2E
	s_waitcnt vmcnt(33)                                        // 000000008E8C: BF8C8F71
	v_mfma_f32_16x16x32_fp8_fp8 v[168:171], a[48:49], v[140:141], v[168:171]// 000000008E90: D3F300A8 0EA31930
	buffer_load_dwordx4 a[128:131], v39, s[12:15], 0 offen     // 000000008E98: E05C1000 80838027
	v_mfma_f32_16x16x32_fp8_fp8 v[168:171], a[50:51], v[142:143], v[168:171]// 000000008EA0: D3F300A8 0EA31D32
	v_mfma_f32_16x16x32_fp8_fp8 v[172:175], a[48:49], v[160:161], v[172:175]// 000000008EA8: D3F300AC 0EB34130
	v_mfma_f32_16x16x32_fp8_fp8 v[172:175], a[50:51], v[162:163], v[172:175]// 000000008EB0: D3F300AC 0EB34532
	v_mfma_f32_16x16x32_fp8_fp8 v[176:179], a[52:53], v[140:141], v[176:179]// 000000008EB8: D3F300B0 0EC31934
	buffer_load_dwordx4 a[132:135], v40, s[12:15], 0 offen     // 000000008EC0: E05C1000 80838428
	v_mfma_f32_16x16x32_fp8_fp8 v[176:179], a[54:55], v[142:143], v[176:179]// 000000008EC8: D3F300B0 0EC31D36
	v_mfma_f32_16x16x32_fp8_fp8 v[180:183], a[52:53], v[160:161], v[180:183]// 000000008ED0: D3F300B4 0ED34134
	v_mfma_f32_16x16x32_fp8_fp8 v[180:183], a[54:55], v[162:163], v[180:183]// 000000008ED8: D3F300B4 0ED34536
	v_mfma_f32_16x16x32_fp8_fp8 v[184:187], a[56:57], v[140:141], v[184:187]// 000000008EE0: D3F300B8 0EE31938
	buffer_load_dwordx4 a[136:139], v41, s[12:15], 0 offen     // 000000008EE8: E05C1000 80838829
	v_mfma_f32_16x16x32_fp8_fp8 v[184:187], a[58:59], v[142:143], v[184:187]// 000000008EF0: D3F300B8 0EE31D3A
	v_mfma_f32_16x16x32_fp8_fp8 v[188:191], a[56:57], v[160:161], v[188:191]// 000000008EF8: D3F300BC 0EF34138
	v_mfma_f32_16x16x32_fp8_fp8 v[188:191], a[58:59], v[162:163], v[188:191]// 000000008F00: D3F300BC 0EF3453A
	v_mfma_f32_16x16x32_fp8_fp8 v[192:195], a[60:61], v[140:141], v[192:195]// 000000008F08: D3F300C0 0F03193C
	buffer_load_dwordx4 a[140:143], v42, s[12:15], 0 offen     // 000000008F10: E05C1000 80838C2A
	s_add_u32 s12, s78, s12                                    // 000000008F18: 800C0C4E
	s_addc_u32 s13, 0, s13                                     // 000000008F1C: 820D0D80
	v_mfma_f32_16x16x32_fp8_fp8 v[192:195], a[62:63], v[142:143], v[192:195]// 000000008F20: D3F300C0 0F031D3E
	v_mfma_f32_16x16x32_fp8_fp8 v[196:199], a[60:61], v[160:161], v[196:199]// 000000008F28: D3F300C4 0F13413C
	v_mfma_f32_16x16x32_fp8_fp8 v[196:199], a[62:63], v[162:163], v[196:199]// 000000008F30: D3F300C4 0F13453E
	s_waitcnt vmcnt(32)                                        // 000000008F38: BF8C8F70
	v_mfma_f32_16x16x32_fp8_fp8 v[168:171], a[64:65], v[144:145], v[168:171]// 000000008F3C: D3F300A8 0EA32140
	buffer_load_dwordx4 a[144:147], v39, s[12:15], 0 offen     // 000000008F44: E05C1000 80839027
	v_mfma_f32_16x16x32_fp8_fp8 v[168:171], a[66:67], v[146:147], v[168:171]// 000000008F4C: D3F300A8 0EA32542
	v_mfma_f32_16x16x32_fp8_fp8 v[172:175], a[64:65], v[164:165], v[172:175]// 000000008F54: D3F300AC 0EB34940
	buffer_load_dword v13, v5, s[16:19], 0 offen               // 000000008F5C: E0501000 80040D05
	v_mfma_f32_16x16x32_fp8_fp8 v[172:175], a[66:67], v[166:167], v[172:175]// 000000008F64: D3F300AC 0EB34D42
	v_mfma_f32_16x16x32_fp8_fp8 v[176:179], a[68:69], v[144:145], v[176:179]// 000000008F6C: D3F300B0 0EC32144
	buffer_load_dwordx4 a[148:151], v40, s[12:15], 0 offen     // 000000008F74: E05C1000 80839428
	v_mfma_f32_16x16x32_fp8_fp8 v[176:179], a[70:71], v[146:147], v[176:179]// 000000008F7C: D3F300B0 0EC32546
	v_mfma_f32_16x16x32_fp8_fp8 v[180:183], a[68:69], v[164:165], v[180:183]// 000000008F84: D3F300B4 0ED34944
	v_mfma_f32_16x16x32_fp8_fp8 v[180:183], a[70:71], v[166:167], v[180:183]// 000000008F8C: D3F300B4 0ED34D46
	v_mfma_f32_16x16x32_fp8_fp8 v[184:187], a[72:73], v[144:145], v[184:187]// 000000008F94: D3F300B8 0EE32148
	buffer_load_dwordx4 a[152:155], v41, s[12:15], 0 offen     // 000000008F9C: E05C1000 80839829
	v_mfma_f32_16x16x32_fp8_fp8 v[184:187], a[74:75], v[146:147], v[184:187]// 000000008FA4: D3F300B8 0EE3254A
	v_mfma_f32_16x16x32_fp8_fp8 v[188:191], a[72:73], v[164:165], v[188:191]// 000000008FAC: D3F300BC 0EF34948
	v_mfma_f32_16x16x32_fp8_fp8 v[188:191], a[74:75], v[166:167], v[188:191]// 000000008FB4: D3F300BC 0EF34D4A
	v_mfma_f32_16x16x32_fp8_fp8 v[192:195], a[76:77], v[144:145], v[192:195]// 000000008FBC: D3F300C0 0F03214C
	buffer_load_dwordx4 a[156:159], v42, s[12:15], 0 offen     // 000000008FC4: E05C1000 80839C2A
	v_mfma_f32_16x16x32_fp8_fp8 v[192:195], a[78:79], v[146:147], v[192:195]// 000000008FCC: D3F300C0 0F03254E
	v_mfma_f32_16x16x32_fp8_fp8 v[196:199], a[76:77], v[164:165], v[196:199]// 000000008FD4: D3F300C4 0F13494C
	v_mfma_f32_16x16x32_fp8_fp8 v[196:199], a[78:79], v[166:167], v[196:199]// 000000008FDC: D3F300C4 0F134D4E
	s_add_u32 s60, 0x200, s80                                  // 000000008FE4: 803C50FF 00000200
	s_cmp_lt_u32 s60, s81                                      // 000000008FEC: BF0A513C
	s_cselect_b32 s56, s56, 0                                  // 000000008FF0: 85388038
	s_cselect_b32 s78, s78, 0                                  // 000000008FF4: 854E804E
	s_cselect_b32 s79, s79, 0                                  // 000000008FF8: 854F804F
	s_add_u32 s12, s56, s12                                    // 000000008FFC: 800C0C38
	s_addc_u32 s13, 0, s13                                     // 000000009000: 820D0D80
	s_add_u32 s16, s79, s16                                    // 000000009004: 8010104F
	s_addc_u32 s17, 0, s17                                     // 000000009008: 82111180
	v_mul_f32_e32 v168, v24, v168                              // 00000000900C: 0B515118
	v_mul_f32_e32 v169, v24, v169                              // 000000009010: 0B535318
	v_mul_f32_e32 v170, v24, v170                              // 000000009014: 0B555518
	v_mul_f32_e32 v171, v24, v171                              // 000000009018: 0B575718
	v_mul_f32_dpp v168, v12, v168 row_newbcast:0 row_mask:0xf bank_mask:0xf// 00000000901C: 0B5150FA FF01500C
	v_mul_f32_dpp v169, v12, v169 row_newbcast:1 row_mask:0xf bank_mask:0xf// 000000009024: 0B5352FA FF01510C
	v_mul_f32_dpp v170, v12, v170 row_newbcast:2 row_mask:0xf bank_mask:0xf// 00000000902C: 0B5554FA FF01520C
	v_mul_f32_dpp v171, v12, v171 row_newbcast:3 row_mask:0xf bank_mask:0xf// 000000009034: 0B5756FA FF01530C
	v_mul_f32_e32 v172, v25, v172                              // 00000000903C: 0B595919
	v_mul_f32_e32 v173, v25, v173                              // 000000009040: 0B5B5B19
	v_mul_f32_e32 v174, v25, v174                              // 000000009044: 0B5D5D19
	v_mul_f32_e32 v175, v25, v175                              // 000000009048: 0B5F5F19
	v_mul_f32_dpp v172, v12, v172 row_newbcast:0 row_mask:0xf bank_mask:0xf// 00000000904C: 0B5958FA FF01500C
	v_mul_f32_dpp v173, v12, v173 row_newbcast:1 row_mask:0xf bank_mask:0xf// 000000009054: 0B5B5AFA FF01510C
	v_mul_f32_dpp v174, v12, v174 row_newbcast:2 row_mask:0xf bank_mask:0xf// 00000000905C: 0B5D5CFA FF01520C
	v_mul_f32_dpp v175, v12, v175 row_newbcast:3 row_mask:0xf bank_mask:0xf// 000000009064: 0B5F5EFA FF01530C
	v_mul_f32_e32 v176, v24, v176                              // 00000000906C: 0B616118
	v_mul_f32_e32 v177, v24, v177                              // 000000009070: 0B636318
	v_mul_f32_e32 v178, v24, v178                              // 000000009074: 0B656518
	v_mul_f32_e32 v179, v24, v179                              // 000000009078: 0B676718
	v_mul_f32_dpp v176, v12, v176 row_newbcast:4 row_mask:0xf bank_mask:0xf// 00000000907C: 0B6160FA FF01540C
	v_mul_f32_dpp v177, v12, v177 row_newbcast:5 row_mask:0xf bank_mask:0xf// 000000009084: 0B6362FA FF01550C
	v_mul_f32_dpp v178, v12, v178 row_newbcast:6 row_mask:0xf bank_mask:0xf// 00000000908C: 0B6564FA FF01560C
	v_mul_f32_dpp v179, v12, v179 row_newbcast:7 row_mask:0xf bank_mask:0xf// 000000009094: 0B6766FA FF01570C
	v_mul_f32_e32 v180, v25, v180                              // 00000000909C: 0B696919
	v_mul_f32_e32 v181, v25, v181                              // 0000000090A0: 0B6B6B19
	v_mul_f32_e32 v182, v25, v182                              // 0000000090A4: 0B6D6D19
	v_mul_f32_e32 v183, v25, v183                              // 0000000090A8: 0B6F6F19
	v_mul_f32_dpp v180, v12, v180 row_newbcast:4 row_mask:0xf bank_mask:0xf// 0000000090AC: 0B6968FA FF01540C
	v_mul_f32_dpp v181, v12, v181 row_newbcast:5 row_mask:0xf bank_mask:0xf// 0000000090B4: 0B6B6AFA FF01550C
	v_mul_f32_dpp v182, v12, v182 row_newbcast:6 row_mask:0xf bank_mask:0xf// 0000000090BC: 0B6D6CFA FF01560C
	v_mul_f32_dpp v183, v12, v183 row_newbcast:7 row_mask:0xf bank_mask:0xf// 0000000090C4: 0B6F6EFA FF01570C
	v_mul_f32_e32 v184, v24, v184                              // 0000000090CC: 0B717118
	v_mul_f32_e32 v185, v24, v185                              // 0000000090D0: 0B737318
	v_mul_f32_e32 v186, v24, v186                              // 0000000090D4: 0B757518
	v_mul_f32_e32 v187, v24, v187                              // 0000000090D8: 0B777718
	v_mul_f32_dpp v184, v12, v184 row_newbcast:8 row_mask:0xf bank_mask:0xf// 0000000090DC: 0B7170FA FF01580C
	v_mul_f32_dpp v185, v12, v185 row_newbcast:9 row_mask:0xf bank_mask:0xf// 0000000090E4: 0B7372FA FF01590C
	v_mul_f32_dpp v186, v12, v186 row_newbcast:10 row_mask:0xf bank_mask:0xf// 0000000090EC: 0B7574FA FF015A0C
	v_mul_f32_dpp v187, v12, v187 row_newbcast:11 row_mask:0xf bank_mask:0xf// 0000000090F4: 0B7776FA FF015B0C
	v_mul_f32_e32 v188, v25, v188                              // 0000000090FC: 0B797919
	v_mul_f32_e32 v189, v25, v189                              // 000000009100: 0B7B7B19
	v_mul_f32_e32 v190, v25, v190                              // 000000009104: 0B7D7D19
	v_mul_f32_e32 v191, v25, v191                              // 000000009108: 0B7F7F19
	v_mul_f32_dpp v188, v12, v188 row_newbcast:8 row_mask:0xf bank_mask:0xf// 00000000910C: 0B7978FA FF01580C
	v_mul_f32_dpp v189, v12, v189 row_newbcast:9 row_mask:0xf bank_mask:0xf// 000000009114: 0B7B7AFA FF01590C
	v_mul_f32_dpp v190, v12, v190 row_newbcast:10 row_mask:0xf bank_mask:0xf// 00000000911C: 0B7D7CFA FF015A0C
	v_mul_f32_dpp v191, v12, v191 row_newbcast:11 row_mask:0xf bank_mask:0xf// 000000009124: 0B7F7EFA FF015B0C
	v_mul_f32_e32 v192, v24, v192                              // 00000000912C: 0B818118
	v_mul_f32_e32 v193, v24, v193                              // 000000009130: 0B838318
	v_mul_f32_e32 v194, v24, v194                              // 000000009134: 0B858518
	v_mul_f32_e32 v195, v24, v195                              // 000000009138: 0B878718
	v_mul_f32_dpp v192, v12, v192 row_newbcast:12 row_mask:0xf bank_mask:0xf// 00000000913C: 0B8180FA FF015C0C
	v_mul_f32_dpp v193, v12, v193 row_newbcast:13 row_mask:0xf bank_mask:0xf// 000000009144: 0B8382FA FF015D0C
	v_mul_f32_dpp v194, v12, v194 row_newbcast:14 row_mask:0xf bank_mask:0xf// 00000000914C: 0B8584FA FF015E0C
	v_mul_f32_dpp v195, v12, v195 row_newbcast:15 row_mask:0xf bank_mask:0xf// 000000009154: 0B8786FA FF015F0C
	v_mul_f32_e32 v196, v25, v196                              // 00000000915C: 0B898919
	v_mul_f32_e32 v197, v25, v197                              // 000000009160: 0B8B8B19
	v_mul_f32_e32 v198, v25, v198                              // 000000009164: 0B8D8D19
	v_mul_f32_e32 v199, v25, v199                              // 000000009168: 0B8F8F19
	v_mul_f32_dpp v196, v12, v196 row_newbcast:12 row_mask:0xf bank_mask:0xf// 00000000916C: 0B8988FA FF015C0C
	v_mul_f32_dpp v197, v12, v197 row_newbcast:13 row_mask:0xf bank_mask:0xf// 000000009174: 0B8B8AFA FF015D0C
	v_mul_f32_dpp v198, v12, v198 row_newbcast:14 row_mask:0xf bank_mask:0xf// 00000000917C: 0B8D8CFA FF015E0C
	v_mul_f32_dpp v199, v12, v199 row_newbcast:15 row_mask:0xf bank_mask:0xf// 000000009184: 0B8F8EFA FF015F0C
	v_cmp_u_f32_e64 s[48:49], v168, v168                       // 00000000918C: D0480030 000351A8
	v_add3_u32 v43, v168, v46, 1                               // 000000009194: D1FF002B 02065DA8
	v_cndmask_b32_e64 v50, v43, v45, s[48:49]                  // 00000000919C: D1000032 00C25B2B
	v_cmp_u_f32_e64 s[48:49], v169, v169                       // 0000000091A4: D0480030 000353A9
	v_add3_u32 v43, v169, v46, 1                               // 0000000091AC: D1FF002B 02065DA9
	v_cndmask_b32_e64 v51, v43, v45, s[48:49]                  // 0000000091B4: D1000033 00C25B2B
	v_perm_b32 v168, v51, v50, s52                             // 0000000091BC: D1ED00A8 00D26533
	v_cmp_u_f32_e64 s[48:49], v170, v170                       // 0000000091C4: D0480030 000355AA
	v_add3_u32 v43, v170, v46, 1                               // 0000000091CC: D1FF002B 02065DAA
	v_cndmask_b32_e64 v50, v43, v45, s[48:49]                  // 0000000091D4: D1000032 00C25B2B
	v_cmp_u_f32_e64 s[48:49], v171, v171                       // 0000000091DC: D0480030 000357AB
	v_add3_u32 v43, v171, v46, 1                               // 0000000091E4: D1FF002B 02065DAB
	v_cndmask_b32_e64 v51, v43, v45, s[48:49]                  // 0000000091EC: D1000033 00C25B2B
	v_perm_b32 v169, v51, v50, s52                             // 0000000091F4: D1ED00A9 00D26533
	v_cmp_u_f32_e64 s[48:49], v172, v172                       // 0000000091FC: D0480030 000359AC
	v_add3_u32 v43, v172, v46, 1                               // 000000009204: D1FF002B 02065DAC
	v_cndmask_b32_e64 v50, v43, v45, s[48:49]                  // 00000000920C: D1000032 00C25B2B
	v_cmp_u_f32_e64 s[48:49], v173, v173                       // 000000009214: D0480030 00035BAD
	v_add3_u32 v43, v173, v46, 1                               // 00000000921C: D1FF002B 02065DAD
	v_cndmask_b32_e64 v51, v43, v45, s[48:49]                  // 000000009224: D1000033 00C25B2B
	v_perm_b32 v170, v51, v50, s52                             // 00000000922C: D1ED00AA 00D26533
	v_cmp_u_f32_e64 s[48:49], v174, v174                       // 000000009234: D0480030 00035DAE
	v_add3_u32 v43, v174, v46, 1                               // 00000000923C: D1FF002B 02065DAE
	v_cndmask_b32_e64 v50, v43, v45, s[48:49]                  // 000000009244: D1000032 00C25B2B
	v_cmp_u_f32_e64 s[48:49], v175, v175                       // 00000000924C: D0480030 00035FAF
	v_add3_u32 v43, v175, v46, 1                               // 000000009254: D1FF002B 02065DAF
	v_cndmask_b32_e64 v51, v43, v45, s[48:49]                  // 00000000925C: D1000033 00C25B2B
	v_perm_b32 v171, v51, v50, s52                             // 000000009264: D1ED00AB 00D26533
	v_cmp_u_f32_e64 s[48:49], v176, v176                       // 00000000926C: D0480030 000361B0
	v_add3_u32 v43, v176, v46, 1                               // 000000009274: D1FF002B 02065DB0
	v_cndmask_b32_e64 v50, v43, v45, s[48:49]                  // 00000000927C: D1000032 00C25B2B
	v_cmp_u_f32_e64 s[48:49], v177, v177                       // 000000009284: D0480030 000363B1
	v_add3_u32 v43, v177, v46, 1                               // 00000000928C: D1FF002B 02065DB1
	v_cndmask_b32_e64 v51, v43, v45, s[48:49]                  // 000000009294: D1000033 00C25B2B
	v_perm_b32 v172, v51, v50, s52                             // 00000000929C: D1ED00AC 00D26533
	v_cmp_u_f32_e64 s[48:49], v178, v178                       // 0000000092A4: D0480030 000365B2
	v_add3_u32 v43, v178, v46, 1                               // 0000000092AC: D1FF002B 02065DB2
	v_cndmask_b32_e64 v50, v43, v45, s[48:49]                  // 0000000092B4: D1000032 00C25B2B
	v_cmp_u_f32_e64 s[48:49], v179, v179                       // 0000000092BC: D0480030 000367B3
	v_add3_u32 v43, v179, v46, 1                               // 0000000092C4: D1FF002B 02065DB3
	v_cndmask_b32_e64 v51, v43, v45, s[48:49]                  // 0000000092CC: D1000033 00C25B2B
	v_perm_b32 v173, v51, v50, s52                             // 0000000092D4: D1ED00AD 00D26533
	v_cmp_u_f32_e64 s[48:49], v180, v180                       // 0000000092DC: D0480030 000369B4
	v_add3_u32 v43, v180, v46, 1                               // 0000000092E4: D1FF002B 02065DB4
	v_cndmask_b32_e64 v50, v43, v45, s[48:49]                  // 0000000092EC: D1000032 00C25B2B
	v_cmp_u_f32_e64 s[48:49], v181, v181                       // 0000000092F4: D0480030 00036BB5
	v_add3_u32 v43, v181, v46, 1                               // 0000000092FC: D1FF002B 02065DB5
	v_cndmask_b32_e64 v51, v43, v45, s[48:49]                  // 000000009304: D1000033 00C25B2B
	v_perm_b32 v174, v51, v50, s52                             // 00000000930C: D1ED00AE 00D26533
	v_cmp_u_f32_e64 s[48:49], v182, v182                       // 000000009314: D0480030 00036DB6
	v_add3_u32 v43, v182, v46, 1                               // 00000000931C: D1FF002B 02065DB6
	v_cndmask_b32_e64 v50, v43, v45, s[48:49]                  // 000000009324: D1000032 00C25B2B
	v_cmp_u_f32_e64 s[48:49], v183, v183                       // 00000000932C: D0480030 00036FB7
	v_add3_u32 v43, v183, v46, 1                               // 000000009334: D1FF002B 02065DB7
	v_cndmask_b32_e64 v51, v43, v45, s[48:49]                  // 00000000933C: D1000033 00C25B2B
	v_perm_b32 v175, v51, v50, s52                             // 000000009344: D1ED00AF 00D26533
	v_cmp_u_f32_e64 s[48:49], v184, v184                       // 00000000934C: D0480030 000371B8
	v_add3_u32 v43, v184, v46, 1                               // 000000009354: D1FF002B 02065DB8
	v_cndmask_b32_e64 v50, v43, v45, s[48:49]                  // 00000000935C: D1000032 00C25B2B
	v_cmp_u_f32_e64 s[48:49], v185, v185                       // 000000009364: D0480030 000373B9
	v_add3_u32 v43, v185, v46, 1                               // 00000000936C: D1FF002B 02065DB9
	v_cndmask_b32_e64 v51, v43, v45, s[48:49]                  // 000000009374: D1000033 00C25B2B
	v_perm_b32 v176, v51, v50, s52                             // 00000000937C: D1ED00B0 00D26533
	v_cmp_u_f32_e64 s[48:49], v186, v186                       // 000000009384: D0480030 000375BA
	v_add3_u32 v43, v186, v46, 1                               // 00000000938C: D1FF002B 02065DBA
	v_cndmask_b32_e64 v50, v43, v45, s[48:49]                  // 000000009394: D1000032 00C25B2B
	v_cmp_u_f32_e64 s[48:49], v187, v187                       // 00000000939C: D0480030 000377BB
	v_add3_u32 v43, v187, v46, 1                               // 0000000093A4: D1FF002B 02065DBB
	v_cndmask_b32_e64 v51, v43, v45, s[48:49]                  // 0000000093AC: D1000033 00C25B2B
	v_perm_b32 v177, v51, v50, s52                             // 0000000093B4: D1ED00B1 00D26533
	v_cmp_u_f32_e64 s[48:49], v188, v188                       // 0000000093BC: D0480030 000379BC
	v_add3_u32 v43, v188, v46, 1                               // 0000000093C4: D1FF002B 02065DBC
	v_cndmask_b32_e64 v50, v43, v45, s[48:49]                  // 0000000093CC: D1000032 00C25B2B
	v_cmp_u_f32_e64 s[48:49], v189, v189                       // 0000000093D4: D0480030 00037BBD
	v_add3_u32 v43, v189, v46, 1                               // 0000000093DC: D1FF002B 02065DBD
	v_cndmask_b32_e64 v51, v43, v45, s[48:49]                  // 0000000093E4: D1000033 00C25B2B
	v_perm_b32 v178, v51, v50, s52                             // 0000000093EC: D1ED00B2 00D26533
	v_cmp_u_f32_e64 s[48:49], v190, v190                       // 0000000093F4: D0480030 00037DBE
	v_add3_u32 v43, v190, v46, 1                               // 0000000093FC: D1FF002B 02065DBE
	v_cndmask_b32_e64 v50, v43, v45, s[48:49]                  // 000000009404: D1000032 00C25B2B
	v_cmp_u_f32_e64 s[48:49], v191, v191                       // 00000000940C: D0480030 00037FBF
	v_add3_u32 v43, v191, v46, 1                               // 000000009414: D1FF002B 02065DBF
	v_cndmask_b32_e64 v51, v43, v45, s[48:49]                  // 00000000941C: D1000033 00C25B2B
	v_perm_b32 v179, v51, v50, s52                             // 000000009424: D1ED00B3 00D26533
	v_cmp_u_f32_e64 s[48:49], v192, v192                       // 00000000942C: D0480030 000381C0
	v_add3_u32 v43, v192, v46, 1                               // 000000009434: D1FF002B 02065DC0
	v_cndmask_b32_e64 v50, v43, v45, s[48:49]                  // 00000000943C: D1000032 00C25B2B
	v_cmp_u_f32_e64 s[48:49], v193, v193                       // 000000009444: D0480030 000383C1
	v_add3_u32 v43, v193, v46, 1                               // 00000000944C: D1FF002B 02065DC1
	v_cndmask_b32_e64 v51, v43, v45, s[48:49]                  // 000000009454: D1000033 00C25B2B
	v_perm_b32 v180, v51, v50, s52                             // 00000000945C: D1ED00B4 00D26533
	v_cmp_u_f32_e64 s[48:49], v194, v194                       // 000000009464: D0480030 000385C2
	v_add3_u32 v43, v194, v46, 1                               // 00000000946C: D1FF002B 02065DC2
	v_cndmask_b32_e64 v50, v43, v45, s[48:49]                  // 000000009474: D1000032 00C25B2B
	v_cmp_u_f32_e64 s[48:49], v195, v195                       // 00000000947C: D0480030 000387C3
	v_add3_u32 v43, v195, v46, 1                               // 000000009484: D1FF002B 02065DC3
	v_cndmask_b32_e64 v51, v43, v45, s[48:49]                  // 00000000948C: D1000033 00C25B2B
	v_perm_b32 v181, v51, v50, s52                             // 000000009494: D1ED00B5 00D26533
	v_cmp_u_f32_e64 s[48:49], v196, v196                       // 00000000949C: D0480030 000389C4
	v_add3_u32 v43, v196, v46, 1                               // 0000000094A4: D1FF002B 02065DC4
	v_cndmask_b32_e64 v50, v43, v45, s[48:49]                  // 0000000094AC: D1000032 00C25B2B
	v_cmp_u_f32_e64 s[48:49], v197, v197                       // 0000000094B4: D0480030 00038BC5
	v_add3_u32 v43, v197, v46, 1                               // 0000000094BC: D1FF002B 02065DC5
	v_cndmask_b32_e64 v51, v43, v45, s[48:49]                  // 0000000094C4: D1000033 00C25B2B
	v_perm_b32 v182, v51, v50, s52                             // 0000000094CC: D1ED00B6 00D26533
	v_cmp_u_f32_e64 s[48:49], v198, v198                       // 0000000094D4: D0480030 00038DC6
	v_add3_u32 v43, v198, v46, 1                               // 0000000094DC: D1FF002B 02065DC6
	v_cndmask_b32_e64 v50, v43, v45, s[48:49]                  // 0000000094E4: D1000032 00C25B2B
	v_cmp_u_f32_e64 s[48:49], v199, v199                       // 0000000094EC: D0480030 00038FC7
	v_add3_u32 v43, v199, v46, 1                               // 0000000094F4: D1FF002B 02065DC7
	v_cndmask_b32_e64 v51, v43, v45, s[48:49]                  // 0000000094FC: D1000033 00C25B2B
	v_perm_b32 v183, v51, v50, s52                             // 000000009504: D1ED00B7 00D26533
	ds_write_b64 v3, v[168:169] offset:28928                   // 00000000950C: D89A7100 0000A803
	ds_write_b64 v3, v[170:171] offset:37632                   // 000000009514: D89A9300 0000AA03
	ds_write_b64 v3, v[172:173] offset:31104                   // 00000000951C: D89A7980 0000AC03
	ds_write_b64 v3, v[174:175] offset:39808                   // 000000009524: D89A9B80 0000AE03
	ds_write_b64 v3, v[176:177] offset:33280                   // 00000000952C: D89A8200 0000B003
	ds_write_b64 v3, v[178:179] offset:41984                   // 000000009534: D89AA400 0000B203
	ds_write_b64 v3, v[180:181] offset:35456                   // 00000000953C: D89A8A80 0000B403
	ds_write_b64 v3, v[182:183] offset:44160                   // 000000009544: D89AAC80 0000B603
	s_waitcnt lgkmcnt(0)                                       // 00000000954C: BF8CC07F
	s_barrier                                                  // 000000009550: BF8A0000
	ds_read_b32 v64, v4 offset:28928                           // 000000009554: D86C7100 40000004
	ds_read_b32 v65, v4 offset:33280                           // 00000000955C: D86C8200 41000004
	ds_read_b32 v66, v4 offset:28960                           // 000000009564: D86C7120 42000004
	ds_read_b32 v67, v4 offset:33312                           // 00000000956C: D86C8220 43000004
	ds_read_b32 v68, v4 offset:28992                           // 000000009574: D86C7140 44000004
	ds_read_b32 v69, v4 offset:33344                           // 00000000957C: D86C8240 45000004
	ds_read_b32 v70, v4 offset:29024                           // 000000009584: D86C7160 46000004
	ds_read_b32 v71, v4 offset:33376                           // 00000000958C: D86C8260 47000004
	ds_read_b32 v72, v4 offset:37632                           // 000000009594: D86C9300 48000004
	ds_read_b32 v73, v4 offset:41984                           // 00000000959C: D86CA400 49000004
	ds_read_b32 v74, v4 offset:37664                           // 0000000095A4: D86C9320 4A000004
	ds_read_b32 v75, v4 offset:42016                           // 0000000095AC: D86CA420 4B000004
	ds_read_b32 v76, v4 offset:37696                           // 0000000095B4: D86C9340 4C000004
	ds_read_b32 v77, v4 offset:42048                           // 0000000095BC: D86CA440 4D000004
	ds_read_b32 v78, v4 offset:37728                           // 0000000095C4: D86C9360 4E000004
	ds_read_b32 v79, v4 offset:42080                           // 0000000095CC: D86CA460 4F000004
	s_waitcnt lgkmcnt(0)                                       // 0000000095D4: BF8CC07F
	s_mov_b64 exec, s[20:21]                                   // 0000000095D8: BEFE0114
	global_atomic_pk_add_bf16 v80, v64, s[8:9]                 // 0000000095DC: DD488000 00084050
	s_mov_b64 exec, s[36:37]                                   // 0000000095E4: BEFE0124
	s_mov_b64 exec, s[20:21]                                   // 0000000095E8: BEFE0114
	global_atomic_pk_add_bf16 v80, v65, s[8:9] offset:256      // 0000000095EC: DD488100 00084150
	s_mov_b64 exec, s[36:37]                                   // 0000000095F4: BEFE0124
	s_mov_b64 exec, s[22:23]                                   // 0000000095F8: BEFE0116
	global_atomic_pk_add_bf16 v82, v66, s[8:9]                 // 0000000095FC: DD488000 00084252
	s_mov_b64 exec, s[36:37]                                   // 000000009604: BEFE0124
	s_mov_b64 exec, s[22:23]                                   // 000000009608: BEFE0116
	global_atomic_pk_add_bf16 v82, v67, s[8:9] offset:256      // 00000000960C: DD488100 00084352
	s_mov_b64 exec, s[36:37]                                   // 000000009614: BEFE0124
	s_mov_b64 exec, s[24:25]                                   // 000000009618: BEFE0118
	global_atomic_pk_add_bf16 v84, v68, s[8:9]                 // 00000000961C: DD488000 00084454
	s_mov_b64 exec, s[36:37]                                   // 000000009624: BEFE0124
	s_mov_b64 exec, s[24:25]                                   // 000000009628: BEFE0118
	global_atomic_pk_add_bf16 v84, v69, s[8:9] offset:256      // 00000000962C: DD488100 00084554
	s_mov_b64 exec, s[36:37]                                   // 000000009634: BEFE0124
	s_mov_b64 exec, s[26:27]                                   // 000000009638: BEFE011A
	global_atomic_pk_add_bf16 v86, v70, s[8:9]                 // 00000000963C: DD488000 00084656
	s_mov_b64 exec, s[36:37]                                   // 000000009644: BEFE0124
	s_mov_b64 exec, s[26:27]                                   // 000000009648: BEFE011A
	global_atomic_pk_add_bf16 v86, v71, s[8:9] offset:256      // 00000000964C: DD488100 00084756
	s_mov_b64 exec, s[36:37]                                   // 000000009654: BEFE0124
	s_mov_b64 exec, s[28:29]                                   // 000000009658: BEFE011C
	global_atomic_pk_add_bf16 v88, v72, s[8:9]                 // 00000000965C: DD488000 00084858
	s_mov_b64 exec, s[36:37]                                   // 000000009664: BEFE0124
	s_mov_b64 exec, s[28:29]                                   // 000000009668: BEFE011C
	global_atomic_pk_add_bf16 v88, v73, s[8:9] offset:256      // 00000000966C: DD488100 00084958
	s_mov_b64 exec, s[36:37]                                   // 000000009674: BEFE0124
	s_mov_b64 exec, s[30:31]                                   // 000000009678: BEFE011E
	global_atomic_pk_add_bf16 v90, v74, s[8:9]                 // 00000000967C: DD488000 00084A5A
	s_mov_b64 exec, s[36:37]                                   // 000000009684: BEFE0124
	s_mov_b64 exec, s[30:31]                                   // 000000009688: BEFE011E
	global_atomic_pk_add_bf16 v90, v75, s[8:9] offset:256      // 00000000968C: DD488100 00084B5A
	s_mov_b64 exec, s[36:37]                                   // 000000009694: BEFE0124
	s_mov_b64 exec, s[32:33]                                   // 000000009698: BEFE0120
	global_atomic_pk_add_bf16 v92, v76, s[8:9]                 // 00000000969C: DD488000 00084C5C
	s_mov_b64 exec, s[36:37]                                   // 0000000096A4: BEFE0124
	s_mov_b64 exec, s[32:33]                                   // 0000000096A8: BEFE0120
	global_atomic_pk_add_bf16 v92, v77, s[8:9] offset:256      // 0000000096AC: DD488100 00084D5C
	s_mov_b64 exec, s[36:37]                                   // 0000000096B4: BEFE0124
	s_mov_b64 exec, s[34:35]                                   // 0000000096B8: BEFE0122
	global_atomic_pk_add_bf16 v94, v78, s[8:9]                 // 0000000096BC: DD488000 00084E5E
	s_mov_b64 exec, s[36:37]                                   // 0000000096C4: BEFE0124
	s_mov_b64 exec, s[34:35]                                   // 0000000096C8: BEFE0122
	global_atomic_pk_add_bf16 v94, v79, s[8:9] offset:256      // 0000000096CC: DD488100 00084F5E
	s_mov_b64 exec, s[36:37]                                   // 0000000096D4: BEFE0124
	s_add_u32 s8, s59, s8                                      // 0000000096D8: 8008083B
	s_addc_u32 s9, 0, s9                                       // 0000000096DC: 82090980
	s_addk_i32 s80, 0x100                                      // 0000000096E0: B7500100
	s_cmp_lt_i32 s80, s81                                      // 0000000096E4: BF045150
	s_cbranch_scc0 label_0FF8                                  // 0000000096E8: BF84F4FD
	s_waitcnt vmcnt(33)                                        // 0000000096EC: BF8C8F71
	s_barrier                                                  // 0000000096F0: BF8A0000
	v_mfma_f32_16x16x32_fp8_fp8 v[200:203], a[80:81], v[128:129], 0// 0000000096F4: D3F300C8 0A030150
	buffer_load_dwordx4 a[0:3], v39, s[12:15], 0 offen         // 0000000096FC: E05C1000 80830027
	v_mfma_f32_16x16x32_fp8_fp8 v[200:203], a[82:83], v[130:131], v[200:203]// 000000009704: D3F300C8 0F230552
	v_mfma_f32_16x16x32_fp8_fp8 v[204:207], a[80:81], v[148:149], 0// 00000000970C: D3F300CC 0A032950
	v_mfma_f32_16x16x32_fp8_fp8 v[204:207], a[82:83], v[150:151], v[204:207]// 000000009714: D3F300CC 0F332D52
	v_mfma_f32_16x16x32_fp8_fp8 v[208:211], a[84:85], v[128:129], 0// 00000000971C: D3F300D0 0A030154
	buffer_load_dwordx4 a[4:7], v40, s[12:15], 0 offen         // 000000009724: E05C1000 80830428
	v_mfma_f32_16x16x32_fp8_fp8 v[208:211], a[86:87], v[130:131], v[208:211]// 00000000972C: D3F300D0 0F430556
	v_mfma_f32_16x16x32_fp8_fp8 v[212:215], a[84:85], v[148:149], 0// 000000009734: D3F300D4 0A032954
	v_mfma_f32_16x16x32_fp8_fp8 v[212:215], a[86:87], v[150:151], v[212:215]// 00000000973C: D3F300D4 0F532D56
	v_mfma_f32_16x16x32_fp8_fp8 v[216:219], a[88:89], v[128:129], 0// 000000009744: D3F300D8 0A030158
	buffer_load_dwordx4 a[8:11], v41, s[12:15], 0 offen        // 00000000974C: E05C1000 80830829
	v_mfma_f32_16x16x32_fp8_fp8 v[216:219], a[90:91], v[130:131], v[216:219]// 000000009754: D3F300D8 0F63055A
	v_mfma_f32_16x16x32_fp8_fp8 v[220:223], a[88:89], v[148:149], 0// 00000000975C: D3F300DC 0A032958
	v_mfma_f32_16x16x32_fp8_fp8 v[220:223], a[90:91], v[150:151], v[220:223]// 000000009764: D3F300DC 0F732D5A
	v_mfma_f32_16x16x32_fp8_fp8 v[224:227], a[92:93], v[128:129], 0// 00000000976C: D3F300E0 0A03015C
	buffer_load_dwordx4 a[12:15], v42, s[12:15], 0 offen       // 000000009774: E05C1000 80830C2A
	s_add_u32 s12, s78, s12                                    // 00000000977C: 800C0C4E
	s_addc_u32 s13, 0, s13                                     // 000000009780: 820D0D80
	v_mfma_f32_16x16x32_fp8_fp8 v[224:227], a[94:95], v[130:131], v[224:227]// 000000009784: D3F300E0 0F83055E
	v_mfma_f32_16x16x32_fp8_fp8 v[228:231], a[92:93], v[148:149], 0// 00000000978C: D3F300E4 0A03295C
	v_mfma_f32_16x16x32_fp8_fp8 v[228:231], a[94:95], v[150:151], v[228:231]// 000000009794: D3F300E4 0F932D5E
	s_waitcnt vmcnt(33)                                        // 00000000979C: BF8C8F71
	v_mfma_f32_16x16x32_fp8_fp8 v[200:203], a[96:97], v[132:133], v[200:203]// 0000000097A0: D3F300C8 0F230960
	buffer_load_dwordx4 a[16:19], v39, s[12:15], 0 offen       // 0000000097A8: E05C1000 80831027
	v_mfma_f32_16x16x32_fp8_fp8 v[200:203], a[98:99], v[134:135], v[200:203]// 0000000097B0: D3F300C8 0F230D62
	v_mfma_f32_16x16x32_fp8_fp8 v[204:207], a[96:97], v[152:153], v[204:207]// 0000000097B8: D3F300CC 0F333160
	v_mfma_f32_16x16x32_fp8_fp8 v[204:207], a[98:99], v[154:155], v[204:207]// 0000000097C0: D3F300CC 0F333562
	v_mfma_f32_16x16x32_fp8_fp8 v[208:211], a[100:101], v[132:133], v[208:211]// 0000000097C8: D3F300D0 0F430964
	buffer_load_dwordx4 a[20:23], v40, s[12:15], 0 offen       // 0000000097D0: E05C1000 80831428
	v_mfma_f32_16x16x32_fp8_fp8 v[208:211], a[102:103], v[134:135], v[208:211]// 0000000097D8: D3F300D0 0F430D66
	v_mfma_f32_16x16x32_fp8_fp8 v[212:215], a[100:101], v[152:153], v[212:215]// 0000000097E0: D3F300D4 0F533164
	v_mfma_f32_16x16x32_fp8_fp8 v[212:215], a[102:103], v[154:155], v[212:215]// 0000000097E8: D3F300D4 0F533566
	v_mfma_f32_16x16x32_fp8_fp8 v[216:219], a[104:105], v[132:133], v[216:219]// 0000000097F0: D3F300D8 0F630968
	buffer_load_dwordx4 a[24:27], v41, s[12:15], 0 offen       // 0000000097F8: E05C1000 80831829
	v_mfma_f32_16x16x32_fp8_fp8 v[216:219], a[106:107], v[134:135], v[216:219]// 000000009800: D3F300D8 0F630D6A
	v_mfma_f32_16x16x32_fp8_fp8 v[220:223], a[104:105], v[152:153], v[220:223]// 000000009808: D3F300DC 0F733168
	v_mfma_f32_16x16x32_fp8_fp8 v[220:223], a[106:107], v[154:155], v[220:223]// 000000009810: D3F300DC 0F73356A
	v_mfma_f32_16x16x32_fp8_fp8 v[224:227], a[108:109], v[132:133], v[224:227]// 000000009818: D3F300E0 0F83096C
	buffer_load_dwordx4 a[28:31], v42, s[12:15], 0 offen       // 000000009820: E05C1000 80831C2A
	s_add_u32 s12, s78, s12                                    // 000000009828: 800C0C4E
	s_addc_u32 s13, 0, s13                                     // 00000000982C: 820D0D80
	v_mfma_f32_16x16x32_fp8_fp8 v[224:227], a[110:111], v[134:135], v[224:227]// 000000009830: D3F300E0 0F830D6E
	v_mfma_f32_16x16x32_fp8_fp8 v[228:231], a[108:109], v[152:153], v[228:231]// 000000009838: D3F300E4 0F93316C
	v_mfma_f32_16x16x32_fp8_fp8 v[228:231], a[110:111], v[154:155], v[228:231]// 000000009840: D3F300E4 0F93356E
	s_waitcnt vmcnt(33)                                        // 000000009848: BF8C8F71
	v_mfma_f32_16x16x32_fp8_fp8 v[200:203], a[112:113], v[136:137], v[200:203]// 00000000984C: D3F300C8 0F231170
	buffer_load_dwordx4 a[32:35], v39, s[12:15], 0 offen       // 000000009854: E05C1000 80832027
	v_mfma_f32_16x16x32_fp8_fp8 v[200:203], a[114:115], v[138:139], v[200:203]// 00000000985C: D3F300C8 0F231572
	v_mfma_f32_16x16x32_fp8_fp8 v[204:207], a[112:113], v[156:157], v[204:207]// 000000009864: D3F300CC 0F333970
	v_mfma_f32_16x16x32_fp8_fp8 v[204:207], a[114:115], v[158:159], v[204:207]// 00000000986C: D3F300CC 0F333D72
	v_mfma_f32_16x16x32_fp8_fp8 v[208:211], a[116:117], v[136:137], v[208:211]// 000000009874: D3F300D0 0F431174
	buffer_load_dwordx4 a[36:39], v40, s[12:15], 0 offen       // 00000000987C: E05C1000 80832428
	v_mfma_f32_16x16x32_fp8_fp8 v[208:211], a[118:119], v[138:139], v[208:211]// 000000009884: D3F300D0 0F431576
	v_mfma_f32_16x16x32_fp8_fp8 v[212:215], a[116:117], v[156:157], v[212:215]// 00000000988C: D3F300D4 0F533974
	v_mfma_f32_16x16x32_fp8_fp8 v[212:215], a[118:119], v[158:159], v[212:215]// 000000009894: D3F300D4 0F533D76
	v_mfma_f32_16x16x32_fp8_fp8 v[216:219], a[120:121], v[136:137], v[216:219]// 00000000989C: D3F300D8 0F631178
	buffer_load_dwordx4 a[40:43], v41, s[12:15], 0 offen       // 0000000098A4: E05C1000 80832829
	v_mfma_f32_16x16x32_fp8_fp8 v[216:219], a[122:123], v[138:139], v[216:219]// 0000000098AC: D3F300D8 0F63157A
	v_mfma_f32_16x16x32_fp8_fp8 v[220:223], a[120:121], v[156:157], v[220:223]// 0000000098B4: D3F300DC 0F733978
	v_mfma_f32_16x16x32_fp8_fp8 v[220:223], a[122:123], v[158:159], v[220:223]// 0000000098BC: D3F300DC 0F733D7A
	v_mfma_f32_16x16x32_fp8_fp8 v[224:227], a[124:125], v[136:137], v[224:227]// 0000000098C4: D3F300E0 0F83117C
	buffer_load_dwordx4 a[44:47], v42, s[12:15], 0 offen       // 0000000098CC: E05C1000 80832C2A
	s_add_u32 s12, s78, s12                                    // 0000000098D4: 800C0C4E
	s_addc_u32 s13, 0, s13                                     // 0000000098D8: 820D0D80
	v_mfma_f32_16x16x32_fp8_fp8 v[224:227], a[126:127], v[138:139], v[224:227]// 0000000098DC: D3F300E0 0F83157E
	v_mfma_f32_16x16x32_fp8_fp8 v[228:231], a[124:125], v[156:157], v[228:231]// 0000000098E4: D3F300E4 0F93397C
	v_mfma_f32_16x16x32_fp8_fp8 v[228:231], a[126:127], v[158:159], v[228:231]// 0000000098EC: D3F300E4 0F933D7E
	s_waitcnt vmcnt(33)                                        // 0000000098F4: BF8C8F71
	v_mfma_f32_16x16x32_fp8_fp8 v[200:203], a[128:129], v[140:141], v[200:203]// 0000000098F8: D3F300C8 0F231980
	buffer_load_dwordx4 a[48:51], v39, s[12:15], 0 offen       // 000000009900: E05C1000 80833027
	v_mfma_f32_16x16x32_fp8_fp8 v[200:203], a[130:131], v[142:143], v[200:203]// 000000009908: D3F300C8 0F231D82
	v_mfma_f32_16x16x32_fp8_fp8 v[204:207], a[128:129], v[160:161], v[204:207]// 000000009910: D3F300CC 0F334180
	v_mfma_f32_16x16x32_fp8_fp8 v[204:207], a[130:131], v[162:163], v[204:207]// 000000009918: D3F300CC 0F334582
	v_mfma_f32_16x16x32_fp8_fp8 v[208:211], a[132:133], v[140:141], v[208:211]// 000000009920: D3F300D0 0F431984
	buffer_load_dwordx4 a[52:55], v40, s[12:15], 0 offen       // 000000009928: E05C1000 80833428
	v_mfma_f32_16x16x32_fp8_fp8 v[208:211], a[134:135], v[142:143], v[208:211]// 000000009930: D3F300D0 0F431D86
	v_mfma_f32_16x16x32_fp8_fp8 v[212:215], a[132:133], v[160:161], v[212:215]// 000000009938: D3F300D4 0F534184
	v_mfma_f32_16x16x32_fp8_fp8 v[212:215], a[134:135], v[162:163], v[212:215]// 000000009940: D3F300D4 0F534586
	v_mfma_f32_16x16x32_fp8_fp8 v[216:219], a[136:137], v[140:141], v[216:219]// 000000009948: D3F300D8 0F631988
	buffer_load_dwordx4 a[56:59], v41, s[12:15], 0 offen       // 000000009950: E05C1000 80833829
	v_mfma_f32_16x16x32_fp8_fp8 v[216:219], a[138:139], v[142:143], v[216:219]// 000000009958: D3F300D8 0F631D8A
	v_mfma_f32_16x16x32_fp8_fp8 v[220:223], a[136:137], v[160:161], v[220:223]// 000000009960: D3F300DC 0F734188
	v_mfma_f32_16x16x32_fp8_fp8 v[220:223], a[138:139], v[162:163], v[220:223]// 000000009968: D3F300DC 0F73458A
	v_mfma_f32_16x16x32_fp8_fp8 v[224:227], a[140:141], v[140:141], v[224:227]// 000000009970: D3F300E0 0F83198C
	buffer_load_dwordx4 a[60:63], v42, s[12:15], 0 offen       // 000000009978: E05C1000 80833C2A
	s_add_u32 s12, s78, s12                                    // 000000009980: 800C0C4E
	s_addc_u32 s13, 0, s13                                     // 000000009984: 820D0D80
	v_mfma_f32_16x16x32_fp8_fp8 v[224:227], a[142:143], v[142:143], v[224:227]// 000000009988: D3F300E0 0F831D8E
	v_mfma_f32_16x16x32_fp8_fp8 v[228:231], a[140:141], v[160:161], v[228:231]// 000000009990: D3F300E4 0F93418C
	v_mfma_f32_16x16x32_fp8_fp8 v[228:231], a[142:143], v[162:163], v[228:231]// 000000009998: D3F300E4 0F93458E
	s_waitcnt vmcnt(32)                                        // 0000000099A0: BF8C8F70
	v_mfma_f32_16x16x32_fp8_fp8 v[200:203], a[144:145], v[144:145], v[200:203]// 0000000099A4: D3F300C8 0F232190
	buffer_load_dwordx4 a[64:67], v39, s[12:15], 0 offen       // 0000000099AC: E05C1000 80834027
	v_mfma_f32_16x16x32_fp8_fp8 v[200:203], a[146:147], v[146:147], v[200:203]// 0000000099B4: D3F300C8 0F232592
	v_mfma_f32_16x16x32_fp8_fp8 v[204:207], a[144:145], v[164:165], v[204:207]// 0000000099BC: D3F300CC 0F334990
	buffer_load_dword v12, v5, s[16:19], 0 offen               // 0000000099C4: E0501000 80040C05
	v_mfma_f32_16x16x32_fp8_fp8 v[204:207], a[146:147], v[166:167], v[204:207]// 0000000099CC: D3F300CC 0F334D92
	v_mfma_f32_16x16x32_fp8_fp8 v[208:211], a[148:149], v[144:145], v[208:211]// 0000000099D4: D3F300D0 0F432194
	buffer_load_dwordx4 a[68:71], v40, s[12:15], 0 offen       // 0000000099DC: E05C1000 80834428
	v_mfma_f32_16x16x32_fp8_fp8 v[208:211], a[150:151], v[146:147], v[208:211]// 0000000099E4: D3F300D0 0F432596
	v_mfma_f32_16x16x32_fp8_fp8 v[212:215], a[148:149], v[164:165], v[212:215]// 0000000099EC: D3F300D4 0F534994
	v_mfma_f32_16x16x32_fp8_fp8 v[212:215], a[150:151], v[166:167], v[212:215]// 0000000099F4: D3F300D4 0F534D96
	v_mfma_f32_16x16x32_fp8_fp8 v[216:219], a[152:153], v[144:145], v[216:219]// 0000000099FC: D3F300D8 0F632198
	buffer_load_dwordx4 a[72:75], v41, s[12:15], 0 offen       // 000000009A04: E05C1000 80834829
	v_mfma_f32_16x16x32_fp8_fp8 v[216:219], a[154:155], v[146:147], v[216:219]// 000000009A0C: D3F300D8 0F63259A
	v_mfma_f32_16x16x32_fp8_fp8 v[220:223], a[152:153], v[164:165], v[220:223]// 000000009A14: D3F300DC 0F734998
	v_mfma_f32_16x16x32_fp8_fp8 v[220:223], a[154:155], v[166:167], v[220:223]// 000000009A1C: D3F300DC 0F734D9A
	v_mfma_f32_16x16x32_fp8_fp8 v[224:227], a[156:157], v[144:145], v[224:227]// 000000009A24: D3F300E0 0F83219C
	buffer_load_dwordx4 a[76:79], v42, s[12:15], 0 offen       // 000000009A2C: E05C1000 80834C2A
	v_mfma_f32_16x16x32_fp8_fp8 v[224:227], a[158:159], v[146:147], v[224:227]// 000000009A34: D3F300E0 0F83259E
	v_mfma_f32_16x16x32_fp8_fp8 v[228:231], a[156:157], v[164:165], v[228:231]// 000000009A3C: D3F300E4 0F93499C
	v_mfma_f32_16x16x32_fp8_fp8 v[228:231], a[158:159], v[166:167], v[228:231]// 000000009A44: D3F300E4 0F934D9E
	s_add_u32 s60, 0x200, s80                                  // 000000009A4C: 803C50FF 00000200
	s_cmp_lt_u32 s60, s81                                      // 000000009A54: BF0A513C
	s_cselect_b32 s56, s56, 0                                  // 000000009A58: 85388038
	s_cselect_b32 s78, s78, 0                                  // 000000009A5C: 854E804E
	s_cselect_b32 s79, s79, 0                                  // 000000009A60: 854F804F
	s_add_u32 s12, s56, s12                                    // 000000009A64: 800C0C38
	s_addc_u32 s13, 0, s13                                     // 000000009A68: 820D0D80
	s_add_u32 s16, s79, s16                                    // 000000009A6C: 8010104F
	s_addc_u32 s17, 0, s17                                     // 000000009A70: 82111180
	v_mul_f32_e32 v200, v24, v200                              // 000000009A74: 0B919118
	v_mul_f32_e32 v201, v24, v201                              // 000000009A78: 0B939318
	v_mul_f32_e32 v202, v24, v202                              // 000000009A7C: 0B959518
	v_mul_f32_e32 v203, v24, v203                              // 000000009A80: 0B979718
	v_mul_f32_dpp v200, v13, v200 row_newbcast:0 row_mask:0xf bank_mask:0xf// 000000009A84: 0B9190FA FF01500D
	v_mul_f32_dpp v201, v13, v201 row_newbcast:1 row_mask:0xf bank_mask:0xf// 000000009A8C: 0B9392FA FF01510D
	v_mul_f32_dpp v202, v13, v202 row_newbcast:2 row_mask:0xf bank_mask:0xf// 000000009A94: 0B9594FA FF01520D
	v_mul_f32_dpp v203, v13, v203 row_newbcast:3 row_mask:0xf bank_mask:0xf// 000000009A9C: 0B9796FA FF01530D
	v_mul_f32_e32 v204, v25, v204                              // 000000009AA4: 0B999919
	v_mul_f32_e32 v205, v25, v205                              // 000000009AA8: 0B9B9B19
	v_mul_f32_e32 v206, v25, v206                              // 000000009AAC: 0B9D9D19
	v_mul_f32_e32 v207, v25, v207                              // 000000009AB0: 0B9F9F19
	v_mul_f32_dpp v204, v13, v204 row_newbcast:0 row_mask:0xf bank_mask:0xf// 000000009AB4: 0B9998FA FF01500D
	v_mul_f32_dpp v205, v13, v205 row_newbcast:1 row_mask:0xf bank_mask:0xf// 000000009ABC: 0B9B9AFA FF01510D
	v_mul_f32_dpp v206, v13, v206 row_newbcast:2 row_mask:0xf bank_mask:0xf// 000000009AC4: 0B9D9CFA FF01520D
	v_mul_f32_dpp v207, v13, v207 row_newbcast:3 row_mask:0xf bank_mask:0xf// 000000009ACC: 0B9F9EFA FF01530D
	v_mul_f32_e32 v208, v24, v208                              // 000000009AD4: 0BA1A118
	v_mul_f32_e32 v209, v24, v209                              // 000000009AD8: 0BA3A318
	v_mul_f32_e32 v210, v24, v210                              // 000000009ADC: 0BA5A518
	v_mul_f32_e32 v211, v24, v211                              // 000000009AE0: 0BA7A718
	v_mul_f32_dpp v208, v13, v208 row_newbcast:4 row_mask:0xf bank_mask:0xf// 000000009AE4: 0BA1A0FA FF01540D
	v_mul_f32_dpp v209, v13, v209 row_newbcast:5 row_mask:0xf bank_mask:0xf// 000000009AEC: 0BA3A2FA FF01550D
	v_mul_f32_dpp v210, v13, v210 row_newbcast:6 row_mask:0xf bank_mask:0xf// 000000009AF4: 0BA5A4FA FF01560D
	v_mul_f32_dpp v211, v13, v211 row_newbcast:7 row_mask:0xf bank_mask:0xf// 000000009AFC: 0BA7A6FA FF01570D
	v_mul_f32_e32 v212, v25, v212                              // 000000009B04: 0BA9A919
	v_mul_f32_e32 v213, v25, v213                              // 000000009B08: 0BABAB19
	v_mul_f32_e32 v214, v25, v214                              // 000000009B0C: 0BADAD19
	v_mul_f32_e32 v215, v25, v215                              // 000000009B10: 0BAFAF19
	v_mul_f32_dpp v212, v13, v212 row_newbcast:4 row_mask:0xf bank_mask:0xf// 000000009B14: 0BA9A8FA FF01540D
	v_mul_f32_dpp v213, v13, v213 row_newbcast:5 row_mask:0xf bank_mask:0xf// 000000009B1C: 0BABAAFA FF01550D
	v_mul_f32_dpp v214, v13, v214 row_newbcast:6 row_mask:0xf bank_mask:0xf// 000000009B24: 0BADACFA FF01560D
	v_mul_f32_dpp v215, v13, v215 row_newbcast:7 row_mask:0xf bank_mask:0xf// 000000009B2C: 0BAFAEFA FF01570D
	v_mul_f32_e32 v216, v24, v216                              // 000000009B34: 0BB1B118
	v_mul_f32_e32 v217, v24, v217                              // 000000009B38: 0BB3B318
	v_mul_f32_e32 v218, v24, v218                              // 000000009B3C: 0BB5B518
	v_mul_f32_e32 v219, v24, v219                              // 000000009B40: 0BB7B718
	v_mul_f32_dpp v216, v13, v216 row_newbcast:8 row_mask:0xf bank_mask:0xf// 000000009B44: 0BB1B0FA FF01580D
	v_mul_f32_dpp v217, v13, v217 row_newbcast:9 row_mask:0xf bank_mask:0xf// 000000009B4C: 0BB3B2FA FF01590D
	v_mul_f32_dpp v218, v13, v218 row_newbcast:10 row_mask:0xf bank_mask:0xf// 000000009B54: 0BB5B4FA FF015A0D
	v_mul_f32_dpp v219, v13, v219 row_newbcast:11 row_mask:0xf bank_mask:0xf// 000000009B5C: 0BB7B6FA FF015B0D
	v_mul_f32_e32 v220, v25, v220                              // 000000009B64: 0BB9B919
	v_mul_f32_e32 v221, v25, v221                              // 000000009B68: 0BBBBB19
	v_mul_f32_e32 v222, v25, v222                              // 000000009B6C: 0BBDBD19
	v_mul_f32_e32 v223, v25, v223                              // 000000009B70: 0BBFBF19
	v_mul_f32_dpp v220, v13, v220 row_newbcast:8 row_mask:0xf bank_mask:0xf// 000000009B74: 0BB9B8FA FF01580D
	v_mul_f32_dpp v221, v13, v221 row_newbcast:9 row_mask:0xf bank_mask:0xf// 000000009B7C: 0BBBBAFA FF01590D
	v_mul_f32_dpp v222, v13, v222 row_newbcast:10 row_mask:0xf bank_mask:0xf// 000000009B84: 0BBDBCFA FF015A0D
	v_mul_f32_dpp v223, v13, v223 row_newbcast:11 row_mask:0xf bank_mask:0xf// 000000009B8C: 0BBFBEFA FF015B0D
	v_mul_f32_e32 v224, v24, v224                              // 000000009B94: 0BC1C118
	v_mul_f32_e32 v225, v24, v225                              // 000000009B98: 0BC3C318
	v_mul_f32_e32 v226, v24, v226                              // 000000009B9C: 0BC5C518
	v_mul_f32_e32 v227, v24, v227                              // 000000009BA0: 0BC7C718
	v_mul_f32_dpp v224, v13, v224 row_newbcast:12 row_mask:0xf bank_mask:0xf// 000000009BA4: 0BC1C0FA FF015C0D
	v_mul_f32_dpp v225, v13, v225 row_newbcast:13 row_mask:0xf bank_mask:0xf// 000000009BAC: 0BC3C2FA FF015D0D
	v_mul_f32_dpp v226, v13, v226 row_newbcast:14 row_mask:0xf bank_mask:0xf// 000000009BB4: 0BC5C4FA FF015E0D
	v_mul_f32_dpp v227, v13, v227 row_newbcast:15 row_mask:0xf bank_mask:0xf// 000000009BBC: 0BC7C6FA FF015F0D
	v_mul_f32_e32 v228, v25, v228                              // 000000009BC4: 0BC9C919
	v_mul_f32_e32 v229, v25, v229                              // 000000009BC8: 0BCBCB19
	v_mul_f32_e32 v230, v25, v230                              // 000000009BCC: 0BCDCD19
	v_mul_f32_e32 v231, v25, v231                              // 000000009BD0: 0BCFCF19
	v_mul_f32_dpp v228, v13, v228 row_newbcast:12 row_mask:0xf bank_mask:0xf// 000000009BD4: 0BC9C8FA FF015C0D
	v_mul_f32_dpp v229, v13, v229 row_newbcast:13 row_mask:0xf bank_mask:0xf// 000000009BDC: 0BCBCAFA FF015D0D
	v_mul_f32_dpp v230, v13, v230 row_newbcast:14 row_mask:0xf bank_mask:0xf// 000000009BE4: 0BCDCCFA FF015E0D
	v_mul_f32_dpp v231, v13, v231 row_newbcast:15 row_mask:0xf bank_mask:0xf// 000000009BEC: 0BCFCEFA FF015F0D
	v_cmp_u_f32_e64 s[48:49], v200, v200                       // 000000009BF4: D0480030 000391C8
	v_add3_u32 v43, v200, v46, 1                               // 000000009BFC: D1FF002B 02065DC8
	v_cndmask_b32_e64 v50, v43, v45, s[48:49]                  // 000000009C04: D1000032 00C25B2B
	v_cmp_u_f32_e64 s[48:49], v201, v201                       // 000000009C0C: D0480030 000393C9
	v_add3_u32 v43, v201, v46, 1                               // 000000009C14: D1FF002B 02065DC9
	v_cndmask_b32_e64 v51, v43, v45, s[48:49]                  // 000000009C1C: D1000033 00C25B2B
	v_perm_b32 v200, v51, v50, s52                             // 000000009C24: D1ED00C8 00D26533
	v_cmp_u_f32_e64 s[48:49], v202, v202                       // 000000009C2C: D0480030 000395CA
	v_add3_u32 v43, v202, v46, 1                               // 000000009C34: D1FF002B 02065DCA
	v_cndmask_b32_e64 v50, v43, v45, s[48:49]                  // 000000009C3C: D1000032 00C25B2B
	v_cmp_u_f32_e64 s[48:49], v203, v203                       // 000000009C44: D0480030 000397CB
	v_add3_u32 v43, v203, v46, 1                               // 000000009C4C: D1FF002B 02065DCB
	v_cndmask_b32_e64 v51, v43, v45, s[48:49]                  // 000000009C54: D1000033 00C25B2B
	v_perm_b32 v201, v51, v50, s52                             // 000000009C5C: D1ED00C9 00D26533
	v_cmp_u_f32_e64 s[48:49], v204, v204                       // 000000009C64: D0480030 000399CC
	v_add3_u32 v43, v204, v46, 1                               // 000000009C6C: D1FF002B 02065DCC
	v_cndmask_b32_e64 v50, v43, v45, s[48:49]                  // 000000009C74: D1000032 00C25B2B
	v_cmp_u_f32_e64 s[48:49], v205, v205                       // 000000009C7C: D0480030 00039BCD
	v_add3_u32 v43, v205, v46, 1                               // 000000009C84: D1FF002B 02065DCD
	v_cndmask_b32_e64 v51, v43, v45, s[48:49]                  // 000000009C8C: D1000033 00C25B2B
	v_perm_b32 v202, v51, v50, s52                             // 000000009C94: D1ED00CA 00D26533
	v_cmp_u_f32_e64 s[48:49], v206, v206                       // 000000009C9C: D0480030 00039DCE
	v_add3_u32 v43, v206, v46, 1                               // 000000009CA4: D1FF002B 02065DCE
	v_cndmask_b32_e64 v50, v43, v45, s[48:49]                  // 000000009CAC: D1000032 00C25B2B
	v_cmp_u_f32_e64 s[48:49], v207, v207                       // 000000009CB4: D0480030 00039FCF
	v_add3_u32 v43, v207, v46, 1                               // 000000009CBC: D1FF002B 02065DCF
	v_cndmask_b32_e64 v51, v43, v45, s[48:49]                  // 000000009CC4: D1000033 00C25B2B
	v_perm_b32 v203, v51, v50, s52                             // 000000009CCC: D1ED00CB 00D26533
	v_cmp_u_f32_e64 s[48:49], v208, v208                       // 000000009CD4: D0480030 0003A1D0
	v_add3_u32 v43, v208, v46, 1                               // 000000009CDC: D1FF002B 02065DD0
	v_cndmask_b32_e64 v50, v43, v45, s[48:49]                  // 000000009CE4: D1000032 00C25B2B
	v_cmp_u_f32_e64 s[48:49], v209, v209                       // 000000009CEC: D0480030 0003A3D1
	v_add3_u32 v43, v209, v46, 1                               // 000000009CF4: D1FF002B 02065DD1
	v_cndmask_b32_e64 v51, v43, v45, s[48:49]                  // 000000009CFC: D1000033 00C25B2B
	v_perm_b32 v204, v51, v50, s52                             // 000000009D04: D1ED00CC 00D26533
	v_cmp_u_f32_e64 s[48:49], v210, v210                       // 000000009D0C: D0480030 0003A5D2
	v_add3_u32 v43, v210, v46, 1                               // 000000009D14: D1FF002B 02065DD2
	v_cndmask_b32_e64 v50, v43, v45, s[48:49]                  // 000000009D1C: D1000032 00C25B2B
	v_cmp_u_f32_e64 s[48:49], v211, v211                       // 000000009D24: D0480030 0003A7D3
	v_add3_u32 v43, v211, v46, 1                               // 000000009D2C: D1FF002B 02065DD3
	v_cndmask_b32_e64 v51, v43, v45, s[48:49]                  // 000000009D34: D1000033 00C25B2B
	v_perm_b32 v205, v51, v50, s52                             // 000000009D3C: D1ED00CD 00D26533
	v_cmp_u_f32_e64 s[48:49], v212, v212                       // 000000009D44: D0480030 0003A9D4
	v_add3_u32 v43, v212, v46, 1                               // 000000009D4C: D1FF002B 02065DD4
	v_cndmask_b32_e64 v50, v43, v45, s[48:49]                  // 000000009D54: D1000032 00C25B2B
	v_cmp_u_f32_e64 s[48:49], v213, v213                       // 000000009D5C: D0480030 0003ABD5
	v_add3_u32 v43, v213, v46, 1                               // 000000009D64: D1FF002B 02065DD5
	v_cndmask_b32_e64 v51, v43, v45, s[48:49]                  // 000000009D6C: D1000033 00C25B2B
	v_perm_b32 v206, v51, v50, s52                             // 000000009D74: D1ED00CE 00D26533
	v_cmp_u_f32_e64 s[48:49], v214, v214                       // 000000009D7C: D0480030 0003ADD6
	v_add3_u32 v43, v214, v46, 1                               // 000000009D84: D1FF002B 02065DD6
	v_cndmask_b32_e64 v50, v43, v45, s[48:49]                  // 000000009D8C: D1000032 00C25B2B
	v_cmp_u_f32_e64 s[48:49], v215, v215                       // 000000009D94: D0480030 0003AFD7
	v_add3_u32 v43, v215, v46, 1                               // 000000009D9C: D1FF002B 02065DD7
	v_cndmask_b32_e64 v51, v43, v45, s[48:49]                  // 000000009DA4: D1000033 00C25B2B
	v_perm_b32 v207, v51, v50, s52                             // 000000009DAC: D1ED00CF 00D26533
	v_cmp_u_f32_e64 s[48:49], v216, v216                       // 000000009DB4: D0480030 0003B1D8
	v_add3_u32 v43, v216, v46, 1                               // 000000009DBC: D1FF002B 02065DD8
	v_cndmask_b32_e64 v50, v43, v45, s[48:49]                  // 000000009DC4: D1000032 00C25B2B
	v_cmp_u_f32_e64 s[48:49], v217, v217                       // 000000009DCC: D0480030 0003B3D9
	v_add3_u32 v43, v217, v46, 1                               // 000000009DD4: D1FF002B 02065DD9
	v_cndmask_b32_e64 v51, v43, v45, s[48:49]                  // 000000009DDC: D1000033 00C25B2B
	v_perm_b32 v208, v51, v50, s52                             // 000000009DE4: D1ED00D0 00D26533
	v_cmp_u_f32_e64 s[48:49], v218, v218                       // 000000009DEC: D0480030 0003B5DA
	v_add3_u32 v43, v218, v46, 1                               // 000000009DF4: D1FF002B 02065DDA
	v_cndmask_b32_e64 v50, v43, v45, s[48:49]                  // 000000009DFC: D1000032 00C25B2B
	v_cmp_u_f32_e64 s[48:49], v219, v219                       // 000000009E04: D0480030 0003B7DB
	v_add3_u32 v43, v219, v46, 1                               // 000000009E0C: D1FF002B 02065DDB
	v_cndmask_b32_e64 v51, v43, v45, s[48:49]                  // 000000009E14: D1000033 00C25B2B
	v_perm_b32 v209, v51, v50, s52                             // 000000009E1C: D1ED00D1 00D26533
	v_cmp_u_f32_e64 s[48:49], v220, v220                       // 000000009E24: D0480030 0003B9DC
	v_add3_u32 v43, v220, v46, 1                               // 000000009E2C: D1FF002B 02065DDC
	v_cndmask_b32_e64 v50, v43, v45, s[48:49]                  // 000000009E34: D1000032 00C25B2B
	v_cmp_u_f32_e64 s[48:49], v221, v221                       // 000000009E3C: D0480030 0003BBDD
	v_add3_u32 v43, v221, v46, 1                               // 000000009E44: D1FF002B 02065DDD
	v_cndmask_b32_e64 v51, v43, v45, s[48:49]                  // 000000009E4C: D1000033 00C25B2B
	v_perm_b32 v210, v51, v50, s52                             // 000000009E54: D1ED00D2 00D26533
	v_cmp_u_f32_e64 s[48:49], v222, v222                       // 000000009E5C: D0480030 0003BDDE
	v_add3_u32 v43, v222, v46, 1                               // 000000009E64: D1FF002B 02065DDE
	v_cndmask_b32_e64 v50, v43, v45, s[48:49]                  // 000000009E6C: D1000032 00C25B2B
	v_cmp_u_f32_e64 s[48:49], v223, v223                       // 000000009E74: D0480030 0003BFDF
	v_add3_u32 v43, v223, v46, 1                               // 000000009E7C: D1FF002B 02065DDF
	v_cndmask_b32_e64 v51, v43, v45, s[48:49]                  // 000000009E84: D1000033 00C25B2B
	v_perm_b32 v211, v51, v50, s52                             // 000000009E8C: D1ED00D3 00D26533
	v_cmp_u_f32_e64 s[48:49], v224, v224                       // 000000009E94: D0480030 0003C1E0
	v_add3_u32 v43, v224, v46, 1                               // 000000009E9C: D1FF002B 02065DE0
	v_cndmask_b32_e64 v50, v43, v45, s[48:49]                  // 000000009EA4: D1000032 00C25B2B
	v_cmp_u_f32_e64 s[48:49], v225, v225                       // 000000009EAC: D0480030 0003C3E1
	v_add3_u32 v43, v225, v46, 1                               // 000000009EB4: D1FF002B 02065DE1
	v_cndmask_b32_e64 v51, v43, v45, s[48:49]                  // 000000009EBC: D1000033 00C25B2B
	v_perm_b32 v212, v51, v50, s52                             // 000000009EC4: D1ED00D4 00D26533
	v_cmp_u_f32_e64 s[48:49], v226, v226                       // 000000009ECC: D0480030 0003C5E2
	v_add3_u32 v43, v226, v46, 1                               // 000000009ED4: D1FF002B 02065DE2
	v_cndmask_b32_e64 v50, v43, v45, s[48:49]                  // 000000009EDC: D1000032 00C25B2B
	v_cmp_u_f32_e64 s[48:49], v227, v227                       // 000000009EE4: D0480030 0003C7E3
	v_add3_u32 v43, v227, v46, 1                               // 000000009EEC: D1FF002B 02065DE3
	v_cndmask_b32_e64 v51, v43, v45, s[48:49]                  // 000000009EF4: D1000033 00C25B2B
	v_perm_b32 v213, v51, v50, s52                             // 000000009EFC: D1ED00D5 00D26533
	v_cmp_u_f32_e64 s[48:49], v228, v228                       // 000000009F04: D0480030 0003C9E4
	v_add3_u32 v43, v228, v46, 1                               // 000000009F0C: D1FF002B 02065DE4
	v_cndmask_b32_e64 v50, v43, v45, s[48:49]                  // 000000009F14: D1000032 00C25B2B
	v_cmp_u_f32_e64 s[48:49], v229, v229                       // 000000009F1C: D0480030 0003CBE5
	v_add3_u32 v43, v229, v46, 1                               // 000000009F24: D1FF002B 02065DE5
	v_cndmask_b32_e64 v51, v43, v45, s[48:49]                  // 000000009F2C: D1000033 00C25B2B
	v_perm_b32 v214, v51, v50, s52                             // 000000009F34: D1ED00D6 00D26533
	v_cmp_u_f32_e64 s[48:49], v230, v230                       // 000000009F3C: D0480030 0003CDE6
	v_add3_u32 v43, v230, v46, 1                               // 000000009F44: D1FF002B 02065DE6
	v_cndmask_b32_e64 v50, v43, v45, s[48:49]                  // 000000009F4C: D1000032 00C25B2B
	v_cmp_u_f32_e64 s[48:49], v231, v231                       // 000000009F54: D0480030 0003CFE7
	v_add3_u32 v43, v231, v46, 1                               // 000000009F5C: D1FF002B 02065DE7
	v_cndmask_b32_e64 v51, v43, v45, s[48:49]                  // 000000009F64: D1000033 00C25B2B
	v_perm_b32 v215, v51, v50, s52                             // 000000009F6C: D1ED00D7 00D26533
	ds_write_b64 v3, v[200:201] offset:28928                   // 000000009F74: D89A7100 0000C803
	ds_write_b64 v3, v[202:203] offset:37632                   // 000000009F7C: D89A9300 0000CA03
	ds_write_b64 v3, v[204:205] offset:31104                   // 000000009F84: D89A7980 0000CC03
	ds_write_b64 v3, v[206:207] offset:39808                   // 000000009F8C: D89A9B80 0000CE03
	ds_write_b64 v3, v[208:209] offset:33280                   // 000000009F94: D89A8200 0000D003
	ds_write_b64 v3, v[210:211] offset:41984                   // 000000009F9C: D89AA400 0000D203
	ds_write_b64 v3, v[212:213] offset:35456                   // 000000009FA4: D89A8A80 0000D403
	ds_write_b64 v3, v[214:215] offset:44160                   // 000000009FAC: D89AAC80 0000D603
	s_waitcnt lgkmcnt(0)                                       // 000000009FB4: BF8CC07F
	s_barrier                                                  // 000000009FB8: BF8A0000
	ds_read_b32 v64, v4 offset:28928                           // 000000009FBC: D86C7100 40000004
	ds_read_b32 v65, v4 offset:33280                           // 000000009FC4: D86C8200 41000004
	ds_read_b32 v66, v4 offset:28960                           // 000000009FCC: D86C7120 42000004
	ds_read_b32 v67, v4 offset:33312                           // 000000009FD4: D86C8220 43000004
	ds_read_b32 v68, v4 offset:28992                           // 000000009FDC: D86C7140 44000004
	ds_read_b32 v69, v4 offset:33344                           // 000000009FE4: D86C8240 45000004
	ds_read_b32 v70, v4 offset:29024                           // 000000009FEC: D86C7160 46000004
	ds_read_b32 v71, v4 offset:33376                           // 000000009FF4: D86C8260 47000004
	ds_read_b32 v72, v4 offset:37632                           // 000000009FFC: D86C9300 48000004
	ds_read_b32 v73, v4 offset:41984                           // 00000000A004: D86CA400 49000004
	ds_read_b32 v74, v4 offset:37664                           // 00000000A00C: D86C9320 4A000004
	ds_read_b32 v75, v4 offset:42016                           // 00000000A014: D86CA420 4B000004
	ds_read_b32 v76, v4 offset:37696                           // 00000000A01C: D86C9340 4C000004
	ds_read_b32 v77, v4 offset:42048                           // 00000000A024: D86CA440 4D000004
	ds_read_b32 v78, v4 offset:37728                           // 00000000A02C: D86C9360 4E000004
	ds_read_b32 v79, v4 offset:42080                           // 00000000A034: D86CA460 4F000004
	s_waitcnt lgkmcnt(0)                                       // 00000000A03C: BF8CC07F
	s_mov_b64 exec, s[20:21]                                   // 00000000A040: BEFE0114
	global_atomic_pk_add_bf16 v80, v64, s[8:9]                 // 00000000A044: DD488000 00084050
	s_mov_b64 exec, s[36:37]                                   // 00000000A04C: BEFE0124
	s_mov_b64 exec, s[20:21]                                   // 00000000A050: BEFE0114
	global_atomic_pk_add_bf16 v80, v65, s[8:9] offset:256      // 00000000A054: DD488100 00084150
	s_mov_b64 exec, s[36:37]                                   // 00000000A05C: BEFE0124
	s_mov_b64 exec, s[22:23]                                   // 00000000A060: BEFE0116
	global_atomic_pk_add_bf16 v82, v66, s[8:9]                 // 00000000A064: DD488000 00084252
	s_mov_b64 exec, s[36:37]                                   // 00000000A06C: BEFE0124
	s_mov_b64 exec, s[22:23]                                   // 00000000A070: BEFE0116
	global_atomic_pk_add_bf16 v82, v67, s[8:9] offset:256      // 00000000A074: DD488100 00084352
	s_mov_b64 exec, s[36:37]                                   // 00000000A07C: BEFE0124
	s_mov_b64 exec, s[24:25]                                   // 00000000A080: BEFE0118
	global_atomic_pk_add_bf16 v84, v68, s[8:9]                 // 00000000A084: DD488000 00084454
	s_mov_b64 exec, s[36:37]                                   // 00000000A08C: BEFE0124
	s_mov_b64 exec, s[24:25]                                   // 00000000A090: BEFE0118
	global_atomic_pk_add_bf16 v84, v69, s[8:9] offset:256      // 00000000A094: DD488100 00084554
	s_mov_b64 exec, s[36:37]                                   // 00000000A09C: BEFE0124
	s_mov_b64 exec, s[26:27]                                   // 00000000A0A0: BEFE011A
	global_atomic_pk_add_bf16 v86, v70, s[8:9]                 // 00000000A0A4: DD488000 00084656
	s_mov_b64 exec, s[36:37]                                   // 00000000A0AC: BEFE0124
	s_mov_b64 exec, s[26:27]                                   // 00000000A0B0: BEFE011A
	global_atomic_pk_add_bf16 v86, v71, s[8:9] offset:256      // 00000000A0B4: DD488100 00084756
	s_mov_b64 exec, s[36:37]                                   // 00000000A0BC: BEFE0124
	s_mov_b64 exec, s[28:29]                                   // 00000000A0C0: BEFE011C
	global_atomic_pk_add_bf16 v88, v72, s[8:9]                 // 00000000A0C4: DD488000 00084858
	s_mov_b64 exec, s[36:37]                                   // 00000000A0CC: BEFE0124
	s_mov_b64 exec, s[28:29]                                   // 00000000A0D0: BEFE011C
	global_atomic_pk_add_bf16 v88, v73, s[8:9] offset:256      // 00000000A0D4: DD488100 00084958
	s_mov_b64 exec, s[36:37]                                   // 00000000A0DC: BEFE0124
	s_mov_b64 exec, s[30:31]                                   // 00000000A0E0: BEFE011E
	global_atomic_pk_add_bf16 v90, v74, s[8:9]                 // 00000000A0E4: DD488000 00084A5A
	s_mov_b64 exec, s[36:37]                                   // 00000000A0EC: BEFE0124
	s_mov_b64 exec, s[30:31]                                   // 00000000A0F0: BEFE011E
	global_atomic_pk_add_bf16 v90, v75, s[8:9] offset:256      // 00000000A0F4: DD488100 00084B5A
	s_mov_b64 exec, s[36:37]                                   // 00000000A0FC: BEFE0124
	s_mov_b64 exec, s[32:33]                                   // 00000000A100: BEFE0120
	global_atomic_pk_add_bf16 v92, v76, s[8:9]                 // 00000000A104: DD488000 00084C5C
	s_mov_b64 exec, s[36:37]                                   // 00000000A10C: BEFE0124
	s_mov_b64 exec, s[32:33]                                   // 00000000A110: BEFE0120
	global_atomic_pk_add_bf16 v92, v77, s[8:9] offset:256      // 00000000A114: DD488100 00084D5C
	s_mov_b64 exec, s[36:37]                                   // 00000000A11C: BEFE0124
	s_mov_b64 exec, s[34:35]                                   // 00000000A120: BEFE0122
	global_atomic_pk_add_bf16 v94, v78, s[8:9]                 // 00000000A124: DD488000 00084E5E
	s_mov_b64 exec, s[36:37]                                   // 00000000A12C: BEFE0124
	s_mov_b64 exec, s[34:35]                                   // 00000000A130: BEFE0122
	global_atomic_pk_add_bf16 v94, v79, s[8:9] offset:256      // 00000000A134: DD488100 00084F5E
	s_mov_b64 exec, s[36:37]                                   // 00000000A13C: BEFE0124
	s_add_u32 s8, s59, s8                                      // 00000000A140: 8008083B
	s_addc_u32 s9, 0, s9                                       // 00000000A144: 82090980
	s_addk_i32 s80, 0x100                                      // 00000000A148: B7500100
	s_cmp_lt_i32 s80, s81                                      // 00000000A14C: BF045150
	s_cbranch_scc0 label_0FF8                                  // 00000000A150: BF84F263
	s_branch label_1861                                        // 00000000A154: BF82FACB

000000000000a158 <label_1D96>:
	s_waitcnt vmcnt(0) expcnt(0) lgkmcnt(0)                    // 00000000A158: BF8C0000
	s_endpgm                                                   // 00000000A15C: BF810000
